;; amdgpu-corpus repo=ROCm/rocFFT kind=compiled arch=gfx1030 opt=O3
	.text
	.amdgcn_target "amdgcn-amd-amdhsa--gfx1030"
	.amdhsa_code_object_version 6
	.protected	bluestein_single_back_len1155_dim1_half_op_CI_CI ; -- Begin function bluestein_single_back_len1155_dim1_half_op_CI_CI
	.globl	bluestein_single_back_len1155_dim1_half_op_CI_CI
	.p2align	8
	.type	bluestein_single_back_len1155_dim1_half_op_CI_CI,@function
bluestein_single_back_len1155_dim1_half_op_CI_CI: ; @bluestein_single_back_len1155_dim1_half_op_CI_CI
; %bb.0:
	s_load_dwordx4 s[12:15], s[4:5], 0x28
	v_mul_u32_u24_e32 v1, 0x4a8, v0
	v_mov_b32_e32 v35, 0
	s_mov_b32 s0, exec_lo
	v_lshrrev_b32_e32 v1, 16, v1
	v_add_nc_u32_e32 v34, s6, v1
	s_waitcnt lgkmcnt(0)
	v_cmpx_gt_u64_e64 s[12:13], v[34:35]
	s_cbranch_execz .LBB0_23
; %bb.1:
	s_clause 0x1
	s_load_dwordx4 s[8:11], s[4:5], 0x18
	s_load_dwordx2 s[6:7], s[4:5], 0x0
	v_mul_lo_u16 v1, v1, 55
	v_sub_nc_u16 v7, v0, v1
	v_and_b32_e32 v89, 0xffff, v7
	v_lshlrev_b32_e32 v79, 2, v89
	s_waitcnt lgkmcnt(0)
	s_load_dwordx4 s[0:3], s[8:9], 0x0
	s_clause 0x4
	global_load_dword v91, v79, s[6:7]
	global_load_dword v90, v79, s[6:7] offset:420
	global_load_dword v88, v79, s[6:7] offset:840
	;; [unrolled: 1-line block ×4, first 2 shown]
	s_waitcnt lgkmcnt(0)
	v_mad_u64_u32 v[0:1], null, s2, v34, 0
	v_mad_u64_u32 v[2:3], null, s0, v89, 0
	v_add_co_u32 v32, s2, s6, v79
	s_mul_hi_u32 s6, s0, 0x69
	v_add_co_ci_u32_e64 v33, null, s7, 0, s2
	s_mul_i32 s2, s0, 0x69
	v_mad_u64_u32 v[4:5], null, s3, v34, v[1:2]
	s_mul_i32 s3, s1, 0x69
	s_add_i32 s3, s6, s3
	s_load_dwordx2 s[6:7], s[4:5], 0x38
	s_lshl_b64 s[2:3], s[2:3], 2
	v_mad_u64_u32 v[5:6], null, s1, v89, v[3:4]
	v_mov_b32_e32 v1, v4
	v_lshlrev_b64 v[0:1], 2, v[0:1]
	v_mov_b32_e32 v3, v5
	v_add_co_u32 v0, vcc_lo, s14, v0
	v_lshlrev_b64 v[2:3], 2, v[2:3]
	v_add_co_ci_u32_e32 v1, vcc_lo, s15, v1, vcc_lo
	v_add_co_u32 v0, vcc_lo, v0, v2
	v_add_co_ci_u32_e32 v1, vcc_lo, v1, v3, vcc_lo
	v_add_co_u32 v2, vcc_lo, v0, s2
	v_add_co_ci_u32_e32 v3, vcc_lo, s3, v1, vcc_lo
	s_clause 0x1
	global_load_dword v4, v[0:1], off
	global_load_dword v5, v[2:3], off
	v_add_co_u32 v0, vcc_lo, v2, s2
	v_add_co_ci_u32_e32 v1, vcc_lo, s3, v3, vcc_lo
	v_add_co_u32 v2, vcc_lo, v0, s2
	v_add_co_ci_u32_e32 v3, vcc_lo, s3, v1, vcc_lo
	s_clause 0x1
	global_load_dword v6, v[0:1], off
	global_load_dword v8, v[2:3], off
	v_add_co_u32 v0, vcc_lo, v2, s2
	v_add_co_ci_u32_e32 v1, vcc_lo, s3, v3, vcc_lo
	v_add_co_u32 v2, vcc_lo, v0, s2
	v_add_co_ci_u32_e32 v3, vcc_lo, s3, v1, vcc_lo
	;; [unrolled: 2-line block ×3, first 2 shown]
	global_load_dword v9, v[0:1], off
	global_load_dword v10, v[2:3], off
	v_add_co_u32 v0, vcc_lo, v2, s2
	v_add_co_ci_u32_e32 v1, vcc_lo, s3, v3, vcc_lo
	s_clause 0x3
	global_load_dword v85, v[30:31], off offset:52
	global_load_dword v84, v[30:31], off offset:472
	;; [unrolled: 1-line block ×4, first 2 shown]
	v_add_co_u32 v2, vcc_lo, v0, s2
	v_add_co_ci_u32_e32 v3, vcc_lo, s3, v1, vcc_lo
	global_load_dword v11, v[0:1], off
	v_add_co_u32 v0, vcc_lo, v2, s2
	v_add_co_ci_u32_e32 v1, vcc_lo, s3, v3, vcc_lo
	global_load_dword v12, v[2:3], off
	;; [unrolled: 3-line block ×3, first 2 shown]
	v_add_co_u32 v0, vcc_lo, v2, s2
	v_add_co_ci_u32_e32 v1, vcc_lo, s3, v3, vcc_lo
	v_add_co_u32 v28, vcc_lo, 0x1000, v32
	v_add_co_ci_u32_e32 v29, vcc_lo, 0, v33, vcc_lo
	global_load_dword v14, v[2:3], off
	global_load_dword v15, v[0:1], off
	s_clause 0x1
	global_load_dword v81, v[30:31], off offset:1732
	global_load_dword v80, v[28:29], off offset:104
	v_add_nc_u32_e32 v2, 0x200, v79
	s_load_dwordx4 s[8:11], s[10:11], 0x0
	v_add_nc_u32_e32 v3, 0x600, v79
	v_cmp_gt_u16_e32 vcc_lo, 50, v7
	s_waitcnt vmcnt(16)
	v_lshrrev_b32_e32 v16, 16, v4
	v_mul_f16_sdwa v17, v91, v4 dst_sel:DWORD dst_unused:UNUSED_PAD src0_sel:WORD_1 src1_sel:DWORD
	s_waitcnt vmcnt(15)
	v_lshrrev_b32_e32 v19, 16, v5
	v_mul_f16_sdwa v20, v90, v5 dst_sel:DWORD dst_unused:UNUSED_PAD src0_sel:WORD_1 src1_sel:DWORD
	v_mul_f16_sdwa v18, v91, v16 dst_sel:DWORD dst_unused:UNUSED_PAD src0_sel:WORD_1 src1_sel:DWORD
	v_fma_f16 v16, v91, v16, -v17
	v_fmac_f16_e32 v18, v91, v4
	v_mul_f16_sdwa v4, v90, v19 dst_sel:DWORD dst_unused:UNUSED_PAD src0_sel:WORD_1 src1_sel:DWORD
	v_fma_f16 v19, v90, v19, -v20
	s_waitcnt vmcnt(14)
	v_lshrrev_b32_e32 v17, 16, v6
	v_mul_f16_sdwa v20, v88, v6 dst_sel:DWORD dst_unused:UNUSED_PAD src0_sel:WORD_1 src1_sel:DWORD
	v_pack_b32_f16 v16, v18, v16
	v_fmac_f16_e32 v4, v90, v5
	s_waitcnt vmcnt(13)
	v_lshrrev_b32_e32 v18, 16, v8
	v_mul_f16_sdwa v5, v88, v17 dst_sel:DWORD dst_unused:UNUSED_PAD src0_sel:WORD_1 src1_sel:DWORD
	v_mul_f16_sdwa v21, v87, v8 dst_sel:DWORD dst_unused:UNUSED_PAD src0_sel:WORD_1 src1_sel:DWORD
	v_fma_f16 v17, v88, v17, -v20
	v_pack_b32_f16 v4, v4, v19
	v_fmac_f16_e32 v5, v88, v6
	v_mul_f16_sdwa v6, v87, v18 dst_sel:DWORD dst_unused:UNUSED_PAD src0_sel:WORD_1 src1_sel:DWORD
	v_fma_f16 v18, v87, v18, -v21
	ds_write2_b32 v79, v16, v4 offset1:105
	v_pack_b32_f16 v4, v5, v17
	s_waitcnt vmcnt(12)
	v_lshrrev_b32_e32 v19, 16, v9
	v_mul_f16_sdwa v20, v86, v9 dst_sel:DWORD dst_unused:UNUSED_PAD src0_sel:WORD_1 src1_sel:DWORD
	v_fmac_f16_e32 v6, v87, v8
	s_waitcnt vmcnt(11)
	v_lshrrev_b32_e32 v8, 16, v10
	s_waitcnt vmcnt(10)
	v_mul_f16_sdwa v16, v85, v10 dst_sel:DWORD dst_unused:UNUSED_PAD src0_sel:WORD_1 src1_sel:DWORD
	v_mul_f16_sdwa v5, v86, v19 dst_sel:DWORD dst_unused:UNUSED_PAD src0_sel:WORD_1 src1_sel:DWORD
	v_fma_f16 v17, v86, v19, -v20
	v_pack_b32_f16 v6, v6, v18
	v_fmac_f16_e32 v5, v86, v9
	v_mul_f16_sdwa v9, v85, v8 dst_sel:DWORD dst_unused:UNUSED_PAD src0_sel:WORD_1 src1_sel:DWORD
	v_fma_f16 v8, v85, v8, -v16
	s_waitcnt vmcnt(6)
	v_lshrrev_b32_e32 v16, 16, v11
	v_mul_f16_sdwa v18, v84, v11 dst_sel:DWORD dst_unused:UNUSED_PAD src0_sel:WORD_1 src1_sel:DWORD
	ds_write2_b32 v2, v4, v6 offset0:82 offset1:187
	v_pack_b32_f16 v6, v5, v17
	v_fmac_f16_e32 v9, v85, v10
	v_mul_f16_sdwa v4, v84, v16 dst_sel:DWORD dst_unused:UNUSED_PAD src0_sel:WORD_1 src1_sel:DWORD
	s_waitcnt vmcnt(5)
	v_lshrrev_b32_e32 v5, 16, v12
	v_fma_f16 v10, v84, v16, -v18
	v_mul_f16_sdwa v16, v83, v12 dst_sel:DWORD dst_unused:UNUSED_PAD src0_sel:WORD_1 src1_sel:DWORD
	v_pack_b32_f16 v8, v9, v8
	v_fmac_f16_e32 v4, v84, v11
	v_mul_f16_sdwa v9, v83, v5 dst_sel:DWORD dst_unused:UNUSED_PAD src0_sel:WORD_1 src1_sel:DWORD
	s_waitcnt vmcnt(4)
	v_lshrrev_b32_e32 v11, 16, v13
	v_fma_f16 v5, v83, v5, -v16
	v_mul_f16_sdwa v16, v82, v13 dst_sel:DWORD dst_unused:UNUSED_PAD src0_sel:WORD_1 src1_sel:DWORD
	v_pack_b32_f16 v10, v4, v10
	v_fmac_f16_e32 v9, v83, v12
	s_waitcnt vmcnt(3)
	v_lshrrev_b32_e32 v4, 16, v14
	s_waitcnt vmcnt(2)
	v_lshrrev_b32_e32 v17, 16, v15
	v_mul_f16_sdwa v12, v82, v11 dst_sel:DWORD dst_unused:UNUSED_PAD src0_sel:WORD_1 src1_sel:DWORD
	v_fma_f16 v11, v82, v11, -v16
	s_waitcnt vmcnt(1)
	v_mul_f16_sdwa v16, v81, v14 dst_sel:DWORD dst_unused:UNUSED_PAD src0_sel:WORD_1 src1_sel:DWORD
	v_pack_b32_f16 v9, v9, v5
	v_mul_f16_sdwa v5, v81, v4 dst_sel:DWORD dst_unused:UNUSED_PAD src0_sel:WORD_1 src1_sel:DWORD
	s_waitcnt vmcnt(0)
	v_mul_f16_sdwa v18, v80, v17 dst_sel:DWORD dst_unused:UNUSED_PAD src0_sel:WORD_1 src1_sel:DWORD
	v_mul_f16_sdwa v19, v80, v15 dst_sel:DWORD dst_unused:UNUSED_PAD src0_sel:WORD_1 src1_sel:DWORD
	v_fmac_f16_e32 v12, v82, v13
	v_fma_f16 v13, v81, v4, -v16
	v_fmac_f16_e32 v5, v81, v14
	v_fmac_f16_e32 v18, v80, v15
	v_fma_f16 v14, v80, v17, -v19
	v_add_nc_u32_e32 v4, 0x800, v79
	v_pack_b32_f16 v11, v12, v11
	v_pack_b32_f16 v12, v5, v13
	v_add_nc_u32_e32 v5, 0xc00, v79
	v_pack_b32_f16 v13, v18, v14
	ds_write2_b32 v3, v6, v8 offset0:36 offset1:141
	ds_write2_b32 v4, v10, v9 offset0:118 offset1:223
	;; [unrolled: 1-line block ×3, first 2 shown]
	ds_write_b32 v79, v13 offset:4200
	s_and_saveexec_b32 s12, vcc_lo
	s_cbranch_execz .LBB0_3
; %bb.2:
	v_mad_u64_u32 v[0:1], null, 0xfffff074, s0, v[0:1]
	s_mulk_i32 s1, 0xf074
	s_clause 0x1
	global_load_dword v8, v[32:33], off offset:220
	global_load_dword v9, v[32:33], off offset:640
	s_sub_i32 s0, s1, s0
	v_add_nc_u32_e32 v37, 0x400, v79
	v_add_nc_u32_e32 v1, s0, v1
	v_add_co_u32 v6, s0, v0, s2
	v_add_co_ci_u32_e64 v7, s0, s3, v1, s0
	global_load_dword v10, v[0:1], off
	v_add_co_u32 v0, s0, v6, s2
	v_add_co_ci_u32_e64 v1, s0, s3, v7, s0
	global_load_dword v11, v[6:7], off
	v_add_co_u32 v6, s0, v0, s2
	v_add_co_ci_u32_e64 v7, s0, s3, v1, s0
	global_load_dword v12, v[0:1], off
	v_add_co_u32 v0, s0, v6, s2
	v_add_co_ci_u32_e64 v1, s0, s3, v7, s0
	s_clause 0x2
	global_load_dword v13, v[32:33], off offset:1060
	global_load_dword v14, v[32:33], off offset:1480
	;; [unrolled: 1-line block ×3, first 2 shown]
	global_load_dword v16, v[6:7], off
	global_load_dword v17, v[0:1], off
	v_add_co_u32 v0, s0, v0, s2
	v_add_co_ci_u32_e64 v1, s0, s3, v1, s0
	s_clause 0x2
	global_load_dword v18, v[30:31], off offset:272
	global_load_dword v19, v[30:31], off offset:692
	;; [unrolled: 1-line block ×3, first 2 shown]
	v_add_co_u32 v6, s0, v0, s2
	v_add_co_ci_u32_e64 v7, s0, s3, v1, s0
	global_load_dword v21, v[0:1], off
	v_add_co_u32 v0, s0, v6, s2
	v_add_co_ci_u32_e64 v1, s0, s3, v7, s0
	global_load_dword v22, v[6:7], off
	;; [unrolled: 3-line block ×4, first 2 shown]
	v_add_co_u32 v6, s0, v0, s2
	v_add_co_ci_u32_e64 v7, s0, s3, v1, s0
	global_load_dword v25, v[30:31], off offset:1532
	global_load_dword v0, v[0:1], off
	global_load_dword v1, v[6:7], off
	s_clause 0x1
	global_load_dword v6, v[30:31], off offset:1952
	global_load_dword v7, v[28:29], off offset:324
	s_waitcnt vmcnt(19)
	v_lshrrev_b32_e32 v26, 16, v10
	v_mul_f16_sdwa v27, v8, v10 dst_sel:DWORD dst_unused:UNUSED_PAD src0_sel:WORD_1 src1_sel:DWORD
	v_mul_f16_sdwa v35, v8, v26 dst_sel:DWORD dst_unused:UNUSED_PAD src0_sel:WORD_1 src1_sel:DWORD
	s_waitcnt vmcnt(18)
	v_lshrrev_b32_e32 v36, 16, v11
	v_mul_f16_sdwa v38, v9, v11 dst_sel:DWORD dst_unused:UNUSED_PAD src0_sel:WORD_1 src1_sel:DWORD
	v_fma_f16 v26, v8, v26, -v27
	v_fmac_f16_e32 v35, v8, v10
	v_mul_f16_sdwa v8, v9, v36 dst_sel:DWORD dst_unused:UNUSED_PAD src0_sel:WORD_1 src1_sel:DWORD
	s_waitcnt vmcnt(17)
	v_lshrrev_b32_e32 v10, 16, v12
	v_fma_f16 v27, v9, v36, -v38
	s_waitcnt vmcnt(16)
	v_mul_f16_sdwa v36, v13, v12 dst_sel:DWORD dst_unused:UNUSED_PAD src0_sel:WORD_1 src1_sel:DWORD
	v_pack_b32_f16 v26, v35, v26
	v_fmac_f16_e32 v8, v9, v11
	v_mul_f16_sdwa v9, v13, v10 dst_sel:DWORD dst_unused:UNUSED_PAD src0_sel:WORD_1 src1_sel:DWORD
	s_waitcnt vmcnt(13)
	v_lshrrev_b32_e32 v11, 16, v16
	v_fma_f16 v10, v13, v10, -v36
	v_mul_f16_sdwa v35, v14, v16 dst_sel:DWORD dst_unused:UNUSED_PAD src0_sel:WORD_1 src1_sel:DWORD
	v_pack_b32_f16 v8, v8, v27
	v_fmac_f16_e32 v9, v13, v12
	s_waitcnt vmcnt(12)
	v_lshrrev_b32_e32 v13, 16, v17
	v_mul_f16_sdwa v12, v14, v11 dst_sel:DWORD dst_unused:UNUSED_PAD src0_sel:WORD_1 src1_sel:DWORD
	v_mul_f16_sdwa v27, v15, v17 dst_sel:DWORD dst_unused:UNUSED_PAD src0_sel:WORD_1 src1_sel:DWORD
	ds_write2_b32 v79, v26, v8 offset0:55 offset1:160
	v_pack_b32_f16 v8, v9, v10
	v_mul_f16_sdwa v9, v15, v13 dst_sel:DWORD dst_unused:UNUSED_PAD src0_sel:WORD_1 src1_sel:DWORD
	v_fma_f16 v11, v14, v11, -v35
	v_fmac_f16_e32 v12, v14, v16
	s_waitcnt vmcnt(8)
	v_lshrrev_b32_e32 v10, 16, v21
	v_fma_f16 v13, v15, v13, -v27
	v_mul_f16_sdwa v14, v18, v21 dst_sel:DWORD dst_unused:UNUSED_PAD src0_sel:WORD_1 src1_sel:DWORD
	v_fmac_f16_e32 v9, v15, v17
	s_waitcnt vmcnt(7)
	v_lshrrev_b32_e32 v15, 16, v22
	v_pack_b32_f16 v11, v12, v11
	v_mul_f16_sdwa v12, v18, v10 dst_sel:DWORD dst_unused:UNUSED_PAD src0_sel:WORD_1 src1_sel:DWORD
	v_fma_f16 v10, v18, v10, -v14
	v_mul_f16_sdwa v14, v19, v22 dst_sel:DWORD dst_unused:UNUSED_PAD src0_sel:WORD_1 src1_sel:DWORD
	v_pack_b32_f16 v9, v9, v13
	v_mul_f16_sdwa v13, v19, v15 dst_sel:DWORD dst_unused:UNUSED_PAD src0_sel:WORD_1 src1_sel:DWORD
	v_fmac_f16_e32 v12, v18, v21
	s_waitcnt vmcnt(6)
	v_lshrrev_b32_e32 v16, 16, v23
	v_mul_f16_sdwa v17, v20, v23 dst_sel:DWORD dst_unused:UNUSED_PAD src0_sel:WORD_1 src1_sel:DWORD
	v_fma_f16 v14, v19, v15, -v14
	v_fmac_f16_e32 v13, v19, v22
	v_pack_b32_f16 v10, v12, v10
	v_mul_f16_sdwa v12, v20, v16 dst_sel:DWORD dst_unused:UNUSED_PAD src0_sel:WORD_1 src1_sel:DWORD
	v_fma_f16 v15, v20, v16, -v17
	s_waitcnt vmcnt(5)
	v_lshrrev_b32_e32 v16, 16, v24
	s_waitcnt vmcnt(4)
	v_mul_f16_sdwa v17, v25, v24 dst_sel:DWORD dst_unused:UNUSED_PAD src0_sel:WORD_1 src1_sel:DWORD
	v_pack_b32_f16 v13, v13, v14
	s_waitcnt vmcnt(3)
	v_lshrrev_b32_e32 v14, 16, v0
	s_waitcnt vmcnt(2)
	v_lshrrev_b32_e32 v18, 16, v1
	v_fmac_f16_e32 v12, v20, v23
	v_mul_f16_sdwa v19, v25, v16 dst_sel:DWORD dst_unused:UNUSED_PAD src0_sel:WORD_1 src1_sel:DWORD
	v_fma_f16 v16, v25, v16, -v17
	s_waitcnt vmcnt(1)
	v_mul_f16_sdwa v17, v6, v0 dst_sel:DWORD dst_unused:UNUSED_PAD src0_sel:WORD_1 src1_sel:DWORD
	v_mul_f16_sdwa v20, v6, v14 dst_sel:DWORD dst_unused:UNUSED_PAD src0_sel:WORD_1 src1_sel:DWORD
	s_waitcnt vmcnt(0)
	v_mul_f16_sdwa v21, v7, v18 dst_sel:DWORD dst_unused:UNUSED_PAD src0_sel:WORD_1 src1_sel:DWORD
	v_mul_f16_sdwa v22, v7, v1 dst_sel:DWORD dst_unused:UNUSED_PAD src0_sel:WORD_1 src1_sel:DWORD
	v_fmac_f16_e32 v19, v25, v24
	v_fma_f16 v14, v6, v14, -v17
	v_fmac_f16_e32 v20, v6, v0
	v_fmac_f16_e32 v21, v7, v1
	v_fma_f16 v0, v7, v18, -v22
	v_pack_b32_f16 v1, v12, v15
	v_add_nc_u32_e32 v6, 0xa00, v79
	v_pack_b32_f16 v7, v19, v16
	v_pack_b32_f16 v12, v20, v14
	;; [unrolled: 1-line block ×3, first 2 shown]
	ds_write2_b32 v37, v8, v11 offset0:9 offset1:114
	ds_write2_b32 v3, v9, v10 offset0:91 offset1:196
	;; [unrolled: 1-line block ×4, first 2 shown]
	ds_write_b32 v79, v0 offset:4420
.LBB0_3:
	s_or_b32 exec_lo, exec_lo, s12
	s_waitcnt lgkmcnt(0)
	s_barrier
	buffer_gl0_inv
	ds_read2_b32 v[10:11], v79 offset1:105
	ds_read2_b32 v[18:19], v2 offset0:82 offset1:187
	ds_read2_b32 v[12:13], v3 offset0:36 offset1:141
	;; [unrolled: 1-line block ×4, first 2 shown]
	ds_read_b32 v20, v79 offset:4200
	v_mov_b32_e32 v0, 0
                                        ; kill: def $vgpr1 killed $sgpr0 killed $exec
                                        ; implicit-def: $vgpr22
                                        ; implicit-def: $vgpr3
                                        ; implicit-def: $vgpr5
                                        ; implicit-def: $vgpr7
                                        ; implicit-def: $vgpr9
	s_and_saveexec_b32 s0, vcc_lo
	s_cbranch_execz .LBB0_5
; %bb.4:
	v_add_nc_u32_e32 v2, 0x400, v79
	v_add_nc_u32_e32 v3, 0x600, v79
	;; [unrolled: 1-line block ×4, first 2 shown]
	ds_read2_b32 v[0:1], v79 offset0:55 offset1:160
	ds_read2_b32 v[8:9], v2 offset0:9 offset1:114
	;; [unrolled: 1-line block ×5, first 2 shown]
	ds_read_b32 v22, v79 offset:4420
.LBB0_5:
	s_or_b32 exec_lo, exec_lo, s0
	s_waitcnt lgkmcnt(5)
	v_pk_add_f16 v26, v10, v11
	s_waitcnt lgkmcnt(0)
	v_pk_add_f16 v35, v20, v11
	v_pk_add_f16 v36, v11, v20 neg_lo:[0,1] neg_hi:[0,1]
	v_pk_add_f16 v11, v17, v18
	v_pk_add_f16 v37, v18, v17 neg_lo:[0,1] neg_hi:[0,1]
	v_pk_add_f16 v27, v26, v18
	v_pk_add_f16 v18, v16, v19
	v_pk_add_f16 v39, v19, v16 neg_lo:[0,1] neg_hi:[0,1]
	v_mov_b32_e32 v23, 0xb853
	v_pk_mul_f16 v38, 0x3abb36a6, v35
	v_pk_add_f16 v27, v27, v19
	v_mov_b32_e32 v21, 0xbb47
	v_lshrrev_b32_e32 v41, 16, v35
	v_mul_f16_sdwa v40, v36, v23 dst_sel:DWORD dst_unused:UNUSED_PAD src0_sel:WORD_1 src1_sel:DWORD
	v_mul_f16_e32 v42, 0xbb47, v36
	v_pk_add_f16 v19, v27, v12
	v_pk_mul_f16 v43, 0x36a6b93d, v11
	v_pk_fma_f16 v45, 0xbb47b853, v36, v38 op_sel:[0,0,1] op_sel_hi:[1,1,0] neg_lo:[0,1,0] neg_hi:[0,1,0]
	v_pk_fma_f16 v46, 0xbb47b853, v36, v38 op_sel:[0,0,1] op_sel_hi:[1,1,0]
	v_mov_b32_e32 v25, 0xbbeb
	v_pk_add_f16 v19, v19, v13
	v_mul_f16_sdwa v27, v37, v21 dst_sel:DWORD dst_unused:UNUSED_PAD src0_sel:WORD_1 src1_sel:DWORD
	v_lshrrev_b32_e32 v48, 16, v11
	v_mul_f16_e32 v49, 0xba0c, v37
	v_fma_f16 v44, v35, 0x3abb, -v40
	v_pk_add_f16 v19, v19, v14
	v_fmamk_f16 v38, v41, 0x36a6, v42
	v_pk_fma_f16 v51, 0xba0cbb47, v37, v43 op_sel:[0,0,1] op_sel_hi:[1,1,0]
	v_bfi_b32 v52, 0xffff, v46, v45
	v_fma_f16 v47, v11, 0x36a6, -v27
	v_pk_add_f16 v50, v19, v15
	v_pk_fma_f16 v19, 0xba0cbb47, v37, v43 op_sel:[0,0,1] op_sel_hi:[1,1,0] neg_lo:[0,1,0] neg_hi:[0,1,0]
	v_fmamk_f16 v43, v48, 0xb93d, v49
	v_add_f16_e32 v44, v10, v44
	v_add_f16_sdwa v38, v10, v38 dst_sel:DWORD dst_unused:UNUSED_PAD src0_sel:WORD_1 src1_sel:DWORD
	v_pk_add_f16 v16, v50, v16
	v_bfi_b32 v50, 0xffff, v51, v19
	v_pk_add_f16 v52, v10, v52 op_sel:[1,0] op_sel_hi:[0,1]
	v_pk_mul_f16 v54, 0xb08ebbad, v18
	v_pk_add_f16 v57, v15, v12
	v_pk_add_f16 v53, v16, v17
	v_mul_f16_sdwa v16, v39, v25 dst_sel:DWORD dst_unused:UNUSED_PAD src0_sel:WORD_1 src1_sel:DWORD
	v_mov_b32_e32 v24, 0xba0c
	v_add_f16_e32 v44, v47, v44
	v_pk_add_f16 v47, v50, v52
	v_add_f16_e32 v38, v43, v38
	v_fma_f16 v43, v18, 0xb08e, -v16
	v_pk_fma_f16 v17, 0x3482bbeb, v39, v54 op_sel:[0,0,1] op_sel_hi:[1,1,0] neg_lo:[0,1,0] neg_hi:[0,1,0]
	v_pk_fma_f16 v50, 0x3482bbeb, v39, v54 op_sel:[0,0,1] op_sel_hi:[1,1,0]
	v_lshrrev_b32_e32 v52, 16, v18
	v_mul_f16_e32 v54, 0x3482, v39
	v_pk_add_f16 v15, v12, v15 neg_lo:[0,1] neg_hi:[0,1]
	v_pk_mul_f16 v55, 0xb93db08e, v57
	v_mov_b32_e32 v26, 0xb482
	v_bfi_b32 v12, 0xffff, v50, v17
	v_add_f16_e32 v43, v43, v44
	v_fmamk_f16 v44, v52, 0xbbad, v54
	v_mul_f16_sdwa v59, v15, v24 dst_sel:DWORD dst_unused:UNUSED_PAD src0_sel:WORD_1 src1_sel:DWORD
	v_pk_fma_f16 v60, 0x3bebba0c, v15, v55 op_sel:[0,0,1] op_sel_hi:[1,1,0] neg_lo:[0,1,0] neg_hi:[0,1,0]
	v_pk_fma_f16 v55, 0x3bebba0c, v15, v55 op_sel:[0,0,1] op_sel_hi:[1,1,0]
	v_pk_add_f16 v56, v13, v14 neg_lo:[0,1] neg_hi:[0,1]
	v_pk_add_f16 v12, v12, v47
	v_add_f16_e32 v38, v44, v38
	v_fma_f16 v44, v57, 0xb93d, -v59
	v_pk_add_f16 v61, v14, v13
	v_lshrrev_b32_e32 v58, 16, v57
	v_mul_f16_e32 v62, 0x3beb, v15
	v_bfi_b32 v13, 0xffff, v55, v60
	v_mul_f16_sdwa v65, v56, v26 dst_sel:DWORD dst_unused:UNUSED_PAD src0_sel:WORD_1 src1_sel:DWORD
	v_pk_mul_f16 v63, 0xbbad3abb, v61
	v_add_f16_e32 v14, v44, v43
	v_fmamk_f16 v43, v58, 0xb08e, v62
	v_pk_add_f16 v13, v13, v12
	v_fma_f16 v12, v61, 0xbbad, -v65
	v_pk_fma_f16 v66, 0x3853b482, v56, v63 op_sel:[0,0,1] op_sel_hi:[1,1,0] neg_lo:[0,1,0] neg_hi:[0,1,0]
	v_pk_fma_f16 v44, 0x3853b482, v56, v63 op_sel:[0,0,1] op_sel_hi:[1,1,0]
	v_add_f16_e32 v38, v43, v38
	v_lshrrev_b32_e32 v64, 16, v61
	v_mul_f16_e32 v67, 0x3853, v56
	v_mul_f16_sdwa v43, v36, v25 dst_sel:DWORD dst_unused:UNUSED_PAD src0_sel:WORD_1 src1_sel:DWORD
	v_add_f16_e32 v14, v12, v14
	v_mov_b32_e32 v12, 0x3482
	v_bfi_b32 v44, 0xffff, v44, v66
	v_fmamk_f16 v47, v64, 0x3abb, v67
	v_fma_f16 v68, v35, 0xb08e, -v43
	v_mul_f16_e32 v69, 0xbbeb, v36
	v_mul_f16_sdwa v70, v37, v12 dst_sel:DWORD dst_unused:UNUSED_PAD src0_sel:WORD_1 src1_sel:DWORD
	v_pk_add_f16 v44, v44, v13
	v_add_f16_e32 v47, v47, v38
	v_add_f16_e32 v13, v10, v68
	v_fmamk_f16 v38, v41, 0xb08e, v69
	v_mul_f16_e32 v68, 0x3482, v37
	v_fma_f16 v71, v11, 0xbbad, -v70
	v_mul_f16_sdwa v72, v36, v24 dst_sel:DWORD dst_unused:UNUSED_PAD src0_sel:WORD_1 src1_sel:DWORD
	v_mul_f16_e32 v77, 0xba0c, v36
	v_add_f16_sdwa v74, v10, v38 dst_sel:DWORD dst_unused:UNUSED_PAD src0_sel:WORD_1 src1_sel:DWORD
	v_fmamk_f16 v75, v48, 0xbbad, v68
	v_add_f16_e32 v71, v71, v13
	v_fma_f16 v76, v35, 0xb93d, -v72
	v_mov_b32_e32 v38, 0x3beb
	v_mov_b32_e32 v13, 0x3b47
	v_add_f16_e32 v74, v75, v74
	v_fmamk_f16 v78, v41, 0xb93d, v77
	v_add_f16_e32 v75, v10, v76
	v_mul_f16_sdwa v76, v37, v38 dst_sel:DWORD dst_unused:UNUSED_PAD src0_sel:WORD_1 src1_sel:DWORD
	v_mul_f16_e32 v92, 0x3beb, v37
	v_mul_f16_sdwa v93, v39, v13 dst_sel:DWORD dst_unused:UNUSED_PAD src0_sel:WORD_1 src1_sel:DWORD
	v_mul_f16_e32 v95, 0x3b47, v39
	v_add_f16_sdwa v78, v10, v78 dst_sel:DWORD dst_unused:UNUSED_PAD src0_sel:WORD_1 src1_sel:DWORD
	v_fma_f16 v94, v11, 0xb08e, -v76
	v_fmamk_f16 v96, v48, 0xb08e, v92
	v_fma_f16 v97, v18, 0x36a6, -v93
	v_fmamk_f16 v98, v52, 0x36a6, v95
	v_mul_f16_sdwa v99, v39, v23 dst_sel:DWORD dst_unused:UNUSED_PAD src0_sel:WORD_1 src1_sel:DWORD
	v_add_f16_e32 v75, v94, v75
	v_add_f16_e32 v78, v96, v78
	;; [unrolled: 1-line block ×4, first 2 shown]
	v_fma_f16 v94, v18, 0x3abb, -v99
	v_mul_f16_e32 v96, 0xb853, v39
	v_mul_f16_sdwa v97, v15, v23 dst_sel:DWORD dst_unused:UNUSED_PAD src0_sel:WORD_1 src1_sel:DWORD
	v_mul_f16_e32 v98, 0xb853, v15
	v_mul_f16_sdwa v100, v15, v26 dst_sel:DWORD dst_unused:UNUSED_PAD src0_sel:WORD_1 src1_sel:DWORD
	v_add_f16_e32 v75, v94, v75
	v_fmamk_f16 v94, v52, 0x3abb, v96
	v_fma_f16 v101, v57, 0x3abb, -v97
	v_fmamk_f16 v102, v58, 0x3abb, v98
	v_fma_f16 v103, v57, 0xbbad, -v100
	v_mul_f16_e32 v104, 0xb482, v15
	v_add_f16_e32 v78, v94, v78
	v_add_f16_e32 v71, v101, v71
	v_add_f16_e32 v74, v102, v74
	v_add_f16_e32 v75, v103, v75
	v_fmamk_f16 v94, v58, 0xbbad, v104
	v_mul_f16_sdwa v101, v56, v24 dst_sel:DWORD dst_unused:UNUSED_PAD src0_sel:WORD_1 src1_sel:DWORD
	v_mul_f16_sdwa v102, v56, v13 dst_sel:DWORD dst_unused:UNUSED_PAD src0_sel:WORD_1 src1_sel:DWORD
	v_mul_f16_e32 v103, 0x3b47, v56
	v_mul_f16_e32 v105, 0xb93d, v64
	v_add_f16_e32 v78, v94, v78
	v_fma_f16 v94, v61, 0xb93d, -v101
	v_fma_f16 v106, v61, 0x36a6, -v102
	v_fmamk_f16 v107, v64, 0x36a6, v103
	v_fmamk_f16 v108, v56, 0xba0c, v105
	v_mul_lo_u16 v73, v89, 11
	v_mov_b32_e32 v109, 2
	v_add_f16_e32 v71, v94, v71
	v_add_f16_e32 v75, v106, v75
	v_add_f16_e32 v78, v107, v78
	v_add_f16_e32 v74, v108, v74
	v_lshlrev_b32_sdwa v94, v109, v73 dst_sel:DWORD dst_unused:UNUSED_PAD src0_sel:DWORD src1_sel:WORD_0
	v_alignbit_b32 v47, v47, v44, 16
	v_pack_b32_f16 v14, v14, v44
	v_pack_b32_f16 v44, v75, v78
	;; [unrolled: 1-line block ×3, first 2 shown]
	s_barrier
	buffer_gl0_inv
	ds_write2_b32 v94, v14, v47 offset0:1 offset1:2
	ds_write2_b32 v94, v71, v44 offset0:3 offset1:4
	v_fma_f16 v14, v41, 0x36a6, -v42
	v_pk_mul_f16 v44, 0xbbad, v35 op_sel_hi:[0,1]
	v_fmac_f16_e32 v43, 0xb08e, v35
	v_fma_f16 v42, v41, 0xb08e, -v69
	v_fma_f16 v41, v41, 0xb93d, -v77
	v_fmac_f16_e32 v40, 0x3abb, v35
	v_fmac_f16_e32 v72, 0xb93d, v35
	v_pk_fma_f16 v35, 0xb482, v36, v44 op_sel:[0,0,1] op_sel_hi:[0,1,0] neg_lo:[0,1,0] neg_hi:[0,1,0]
	v_pk_fma_f16 v36, 0xb482, v36, v44 op_sel:[0,0,1] op_sel_hi:[0,1,0]
	v_add_f16_sdwa v71, v10, v14 dst_sel:DWORD dst_unused:UNUSED_PAD src0_sel:WORD_1 src1_sel:DWORD
	v_add_f16_e32 v73, v10, v43
	v_pk_mul_f16 v14, 0x3abb, v11 op_sel_hi:[0,1]
	v_alignbit_b32 v43, s0, v10, 16
	v_alignbit_b32 v46, s0, v46, 16
	v_add_f16_sdwa v74, v10, v41 dst_sel:DWORD dst_unused:UNUSED_PAD src0_sel:WORD_1 src1_sel:DWORD
	v_add_f16_sdwa v75, v10, v45 dst_sel:DWORD dst_unused:UNUSED_PAD src0_sel:WORD_1 src1_sel:DWORD
	v_alignbit_b32 v41, s0, v35, 16
	v_pk_add_f16 v36, v10, v36 op_sel:[1,0] op_sel_hi:[0,1]
	v_pk_fma_f16 v44, 0x3853, v37, v14 op_sel:[0,0,1] op_sel_hi:[0,1,0] neg_lo:[0,1,0] neg_hi:[0,1,0]
	v_pk_mul_f16 v45, 0xb93d, v18 op_sel_hi:[0,1]
	v_pk_fma_f16 v14, 0x3853, v37, v14 op_sel:[0,0,1] op_sel_hi:[0,1,0]
	v_pk_add_f16 v35, v43, v35
	v_add_f16_e32 v69, v10, v40
	v_pk_add_f16 v40, v10, v46
	v_add_f16_sdwa v42, v10, v42 dst_sel:DWORD dst_unused:UNUSED_PAD src0_sel:WORD_1 src1_sel:DWORD
	v_add_f16_e32 v72, v10, v72
	v_pk_add_f16 v10, v10, v41
	v_alignbit_b32 v37, s0, v44, 16
	v_pk_fma_f16 v41, 0xba0c, v39, v45 op_sel:[0,0,1] op_sel_hi:[0,1,0] neg_lo:[0,1,0] neg_hi:[0,1,0]
	v_pk_add_f16 v14, v14, v36
	v_pk_fma_f16 v36, 0xba0c, v39, v45 op_sel:[0,0,1] op_sel_hi:[0,1,0]
	v_pk_mul_f16 v39, 0x36a6, v57 op_sel_hi:[0,1]
	v_pk_add_f16 v35, v44, v35
	v_pk_add_f16 v10, v37, v10
	v_alignbit_b32 v37, s0, v41, 16
	v_pk_add_f16 v14, v36, v14
	v_pk_fma_f16 v36, 0x3b47, v15, v39 op_sel:[0,0,1] op_sel_hi:[0,1,0] neg_lo:[0,1,0] neg_hi:[0,1,0]
	v_pk_fma_f16 v15, 0x3b47, v15, v39 op_sel:[0,0,1] op_sel_hi:[0,1,0]
	v_pk_add_f16 v35, v41, v35
	v_pk_mul_f16 v39, 0xb08e, v61 op_sel_hi:[0,1]
	v_pk_add_f16 v37, v37, v10
	v_alignbit_b32 v41, s0, v36, 16
	v_pk_add_f16 v14, v15, v14
	v_pk_add_f16 v10, v1, v22 neg_lo:[0,1] neg_hi:[0,1]
	v_pk_add_f16 v15, v36, v35
	v_pk_fma_f16 v36, 0xbbeb, v56, v39 op_sel:[0,0,1] op_sel_hi:[0,1,0]
	v_pk_fma_f16 v39, 0xbbeb, v56, v39 op_sel:[0,0,1] op_sel_hi:[0,1,0] neg_lo:[0,1,0] neg_hi:[0,1,0]
	v_pk_add_f16 v35, v22, v1
	v_mul_f16_sdwa v43, v10, v23 dst_sel:DWORD dst_unused:UNUSED_PAD src0_sel:WORD_1 src1_sel:DWORD
	v_pk_add_f16 v37, v41, v37
	v_pk_add_f16 v77, v36, v14
	;; [unrolled: 1-line block ×3, first 2 shown]
	v_alignbit_b32 v15, s0, v39, 16
	v_pk_add_f16 v14, v8, v3 neg_lo:[0,1] neg_hi:[0,1]
	v_fmamk_f16 v39, v35, 0x3abb, v43
	v_pk_add_f16 v36, v3, v8
	v_alignbit_b32 v51, s0, v51, 16
	v_pk_add_f16 v106, v15, v37
	v_mul_f16_sdwa v45, v14, v21 dst_sel:DWORD dst_unused:UNUSED_PAD src0_sel:WORD_1 src1_sel:DWORD
	v_pk_add_f16 v15, v9, v2 neg_lo:[0,1] neg_hi:[0,1]
	v_add_f16_e32 v107, v39, v0
	v_pk_add_f16 v37, v2, v9
	v_fma_f16 v49, v48, 0xb93d, -v49
	v_fmamk_f16 v108, v36, 0x36a6, v45
	v_mul_f16_sdwa v44, v15, v25 dst_sel:DWORD dst_unused:UNUSED_PAD src0_sel:WORD_1 src1_sel:DWORD
	v_alignbit_b32 v78, v78, v77, 16
	v_pack_b32_f16 v77, v106, v77
	v_alignbit_b32 v50, s0, v50, 16
	v_add_f16_e32 v107, v108, v107
	v_fmamk_f16 v108, v37, 0xb08e, v44
	v_fmac_f16_e32 v76, 0xb08e, v11
	v_fmac_f16_e32 v70, 0xbbad, v11
	;; [unrolled: 1-line block ×4, first 2 shown]
	v_add_f16_e32 v106, v108, v107
	v_pk_add_f16 v107, v53, v20
	v_pk_add_f16 v20, v51, v40
	v_add_f16_e32 v40, v49, v71
	v_fma_f16 v49, v48, 0xbbad, -v68
	v_fma_f16 v48, v48, 0xb08e, -v92
	v_add_f16_e32 v53, v76, v72
	v_pk_add_f16 v20, v50, v20
	v_fma_f16 v50, v52, 0x3abb, -v96
	v_add_f16_e32 v42, v49, v42
	v_fma_f16 v49, v52, 0xbbad, -v54
	v_add_f16_e32 v48, v48, v74
	v_add_f16_e32 v51, v70, v73
	v_lshlrev_b32_e32 v20, 16, v20
	v_fmac_f16_e32 v97, 0x3abb, v57
	v_add_f16_e32 v40, v49, v40
	v_fma_f16 v49, v52, 0x36a6, -v95
	v_fma_f16 v52, v58, 0xb08e, -v62
	v_add_f16_e32 v48, v50, v48
	v_fma_f16 v50, v58, 0xbbad, -v104
	v_add_f16_e32 v51, v93, v51
	v_add_f16_e32 v42, v49, v42
	;; [unrolled: 1-line block ×3, first 2 shown]
	v_fma_f16 v52, v64, 0x3abb, -v67
	v_add_f16_e32 v49, v99, v53
	v_fma_f16 v53, v58, 0x3abb, -v98
	v_add_f16_e32 v50, v50, v48
	v_mul_f16_e32 v48, 0xba0c, v56
	v_add_f16_e32 v52, v52, v40
	v_pk_mul_f16 v40, 0x3853b482, v56
	v_fmac_f16_e32 v100, 0xbbad, v57
	v_pack_b32_f16 v53, v53, v63
	v_pk_add_f16 v20, v55, v20
	v_lshrrev_b32_e32 v41, 16, v35
	v_bfi_b32 v40, 0xffff, v42, v40
	v_pk_add_f16 v42, v105, v48 neg_lo:[0,1] neg_hi:[0,1]
	v_mul_f16_e32 v46, 0xbb47, v10
	v_add_f16_e32 v51, v97, v51
	v_add_f16_e32 v49, v100, v49
	v_fmac_f16_e32 v102, 0x36a6, v61
	v_fma_f16 v54, v64, 0x36a6, -v103
	v_pk_add_f16 v53, v53, v40
	v_bfi_b32 v20, 0xffff, v42, v20
	v_fmac_f16_e32 v101, 0xb93d, v61
	v_fma_f16 v21, v41, 0x36a6, -v46
	v_lshrrev_b32_e32 v39, 16, v36
	v_mul_f16_e32 v47, 0xba0c, v14
	v_add_f16_e32 v49, v102, v49
	v_pk_mul_f16 v58, 0x3abb36a6, v35
	v_add_f16_e32 v50, v54, v50
	v_pk_add_f16 v40, v6, v5 neg_lo:[0,1] neg_hi:[0,1]
	v_pk_add_f16 v20, v20, v53
	v_add_f16_e32 v51, v101, v51
	v_add_f16_sdwa v21, v21, v0 dst_sel:DWORD dst_unused:UNUSED_PAD src0_sel:DWORD src1_sel:WORD_1
	v_fma_f16 v109, v39, 0xb93d, -v47
	v_lshrrev_b32_e32 v48, 16, v37
	v_mul_f16_e32 v53, 0x3482, v15
	v_pk_add_f16 v42, v5, v6
	v_pack_b32_f16 v67, v49, v50
	v_mul_f16_sdwa v50, v40, v24 dst_sel:DWORD dst_unused:UNUSED_PAD src0_sel:WORD_1 src1_sel:DWORD
	v_pack_b32_f16 v70, v51, v20
	v_pk_mul_f16 v62, 0x36a6b93d, v36
	v_pk_fma_f16 v51, 0xbb47b853, v10, v58 op_sel:[0,0,1] op_sel_hi:[1,1,0]
	v_add_f16_e32 v21, v109, v21
	v_alignbit_b32 v68, v52, v20, 16
	v_fma_f16 v20, v48, 0xbbad, -v53
	v_fmamk_f16 v54, v42, 0xb93d, v50
	v_lshrrev_b32_e32 v49, 16, v42
	v_mul_f16_e32 v55, 0x3beb, v40
	v_pk_fma_f16 v52, 0xba0cbb47, v14, v62 op_sel:[0,0,1] op_sel_hi:[1,1,0]
	v_pk_mul_f16 v63, 0xb08ebbad, v37
	v_add_f16_sdwa v64, v51, v0 dst_sel:DWORD dst_unused:UNUSED_PAD src0_sel:WORD_1 src1_sel:DWORD
	v_add_f16_e32 v20, v20, v21
	v_add_f16_e32 v21, v54, v106
	v_fma_f16 v56, v49, 0xb08e, -v55
	v_pk_fma_f16 v54, 0x3482bbeb, v15, v63 op_sel:[0,0,1] op_sel_hi:[1,1,0]
	v_add_f16_sdwa v64, v52, v64 dst_sel:DWORD dst_unused:UNUSED_PAD src0_sel:WORD_1 src1_sel:DWORD
	v_fmac_f16_e32 v27, 0x36a6, v11
	v_pk_add_f16 v11, v7, v4 neg_lo:[0,1] neg_hi:[0,1]
	v_add_f16_e32 v72, v56, v20
	v_fmac_f16_e32 v16, 0xb08e, v18
	v_add_f16_sdwa v20, v54, v64 dst_sel:DWORD dst_unused:UNUSED_PAD src0_sel:WORD_1 src1_sel:DWORD
	v_add_f16_e32 v64, v19, v75
	v_add_f16_e32 v69, v27, v69
	v_pk_add_f16 v18, v4, v7
	v_mul_f16_sdwa v27, v11, v26 dst_sel:DWORD dst_unused:UNUSED_PAD src0_sel:WORD_1 src1_sel:DWORD
	v_fmac_f16_e32 v59, 0xb93d, v57
	v_add_f16_e32 v57, v17, v64
	v_pk_fma_f16 v17, 0xbb47b853, v10, v58 op_sel:[0,0,1] op_sel_hi:[1,1,0] neg_lo:[0,1,0] neg_hi:[0,1,0]
	v_add_f16_e32 v69, v16, v69
	v_fmamk_f16 v16, v18, 0xbbad, v27
	v_pk_fma_f16 v58, 0xba0cbb47, v14, v62 op_sel:[0,0,1] op_sel_hi:[1,1,0] neg_lo:[0,1,0] neg_hi:[0,1,0]
	v_pk_mul_f16 v71, 0xb93db08e, v42
	v_add_f16_sdwa v62, v17, v0 dst_sel:DWORD dst_unused:UNUSED_PAD src0_sel:DWORD src1_sel:WORD_1
	v_mul_f16_e32 v64, 0x3853, v11
	v_add_f16_e32 v21, v16, v21
	v_lshrrev_b32_e32 v16, 16, v18
	v_fmac_f16_e32 v65, 0xbbad, v61
	v_pk_fma_f16 v63, 0x3482bbeb, v15, v63 op_sel:[0,0,1] op_sel_hi:[1,1,0] neg_lo:[0,1,0] neg_hi:[0,1,0]
	v_add_f16_e32 v61, v58, v62
	s_load_dwordx2 s[2:3], s[4:5], 0x8
	v_add_f16_e32 v59, v59, v69
	v_add_f16_e32 v69, v60, v57
	v_pk_fma_f16 v56, 0x3bebba0c, v40, v71 op_sel:[0,0,1] op_sel_hi:[1,1,0]
	v_pk_mul_f16 v73, 0xbbad3abb, v18
	v_fma_f16 v62, v16, 0x3abb, -v64
	v_pk_fma_f16 v60, 0x3bebba0c, v40, v71 op_sel:[0,0,1] op_sel_hi:[1,1,0] neg_lo:[0,1,0] neg_hi:[0,1,0]
	v_add_f16_e32 v61, v63, v61
	v_add_f16_e32 v59, v65, v59
	;; [unrolled: 1-line block ×3, first 2 shown]
	v_add_f16_sdwa v20, v56, v20 dst_sel:DWORD dst_unused:UNUSED_PAD src0_sel:WORD_1 src1_sel:DWORD
	v_pk_fma_f16 v19, 0x3853b482, v11, v73 op_sel:[0,0,1] op_sel_hi:[1,1,0]
	v_add_f16_e32 v57, v62, v72
	v_pk_fma_f16 v62, 0x3853b482, v11, v73 op_sel:[0,0,1] op_sel_hi:[1,1,0] neg_lo:[0,1,0] neg_hi:[0,1,0]
	v_add_f16_e32 v66, v60, v61
	v_add_co_u32 v61, s0, v89, 55
	v_pack_b32_f16 v65, v59, v65
	v_add_co_ci_u32_e64 v59, null, 0, 0, s0
	v_add_f16_sdwa v20, v19, v20 dst_sel:DWORD dst_unused:UNUSED_PAD src0_sel:WORD_1 src1_sel:DWORD
	v_add_f16_e32 v59, v62, v66
	v_mul_u32_u24_e32 v93, 11, v61
	ds_write2_b32 v94, v77, v78 offset0:5 offset1:6
	ds_write2_b32 v94, v107, v67 offset1:7
	ds_write2_b32 v94, v70, v68 offset0:8 offset1:9
	ds_write_b32 v94, v65 offset:40
	s_and_saveexec_b32 s0, vcc_lo
	s_cbranch_execz .LBB0_7
; %bb.6:
	v_mul_f16_e32 v65, 0xb93d, v41
	v_mul_f16_e32 v69, 0xb08e, v39
	;; [unrolled: 1-line block ×3, first 2 shown]
	v_mul_f16_sdwa v78, v10, v24 dst_sel:DWORD dst_unused:UNUSED_PAD src0_sel:WORD_1 src1_sel:DWORD
	v_mul_f16_e32 v92, 0xbbad, v49
	v_fmamk_f16 v70, v10, 0x3a0c, v65
	v_fmamk_f16 v74, v14, 0xbbeb, v69
	v_mul_f16_sdwa v38, v14, v38 dst_sel:DWORD dst_unused:UNUSED_PAD src0_sel:WORD_1 src1_sel:DWORD
	v_fmamk_f16 v96, v35, 0xb93d, v78
	v_mul_f16_e32 v97, 0x36a6, v16
	v_add_f16_sdwa v70, v70, v0 dst_sel:DWORD dst_unused:UNUSED_PAD src0_sel:DWORD src1_sel:WORD_1
	v_mul_f16_sdwa v99, v15, v23 dst_sel:DWORD dst_unused:UNUSED_PAD src0_sel:WORD_1 src1_sel:DWORD
	v_fmamk_f16 v98, v36, 0xb08e, v38
	v_add_f16_e32 v96, v96, v0
	v_fmac_f16_e32 v65, 0xba0c, v10
	v_add_f16_e32 v70, v74, v70
	v_fmamk_f16 v74, v15, 0x3853, v75
	v_fma_f16 v78, v35, 0xb93d, -v78
	v_pk_add_f16 v1, v1, v0
	v_mul_f16_e32 v66, 0x3abb, v35
	v_add_f16_e32 v96, v98, v96
	v_add_f16_e32 v70, v74, v70
	v_fmamk_f16 v74, v40, 0x3482, v92
	v_fmamk_f16 v98, v37, 0x3abb, v99
	v_mul_f16_sdwa v26, v40, v26 dst_sel:DWORD dst_unused:UNUSED_PAD src0_sel:WORD_1 src1_sel:DWORD
	v_add_f16_sdwa v65, v65, v0 dst_sel:DWORD dst_unused:UNUSED_PAD src0_sel:DWORD src1_sel:WORD_1
	v_fmac_f16_e32 v69, 0x3beb, v14
	v_add_f16_e32 v70, v74, v70
	v_fmamk_f16 v74, v11, 0xbb47, v97
	v_add_f16_e32 v78, v78, v0
	v_fma_f16 v38, v36, 0xb08e, -v38
	v_pk_add_f16 v1, v8, v1
	v_mul_f16_e32 v71, 0x36a6, v36
	v_add_f16_e32 v70, v74, v70
	v_add_f16_e32 v74, v98, v96
	v_fmamk_f16 v96, v42, 0xbbad, v26
	v_mul_f16_sdwa v98, v11, v13 dst_sel:DWORD dst_unused:UNUSED_PAD src0_sel:WORD_1 src1_sel:DWORD
	v_add_f16_e32 v65, v69, v65
	v_fmac_f16_e32 v75, 0xb853, v15
	v_add_f16_e32 v38, v38, v78
	v_fma_f16 v69, v37, 0x3abb, -v99
	v_mul_f16_e32 v78, 0xbbeb, v10
	v_sub_f16_e32 v43, v66, v43
	v_pk_add_f16 v1, v9, v1
	v_mul_f16_e32 v68, 0x36a6, v41
	v_mul_f16_e32 v73, 0xb08e, v37
	v_add_f16_e32 v74, v96, v74
	v_fmamk_f16 v96, v18, 0x36a6, v98
	v_add_f16_e32 v65, v75, v65
	v_fmac_f16_e32 v92, 0xb482, v40
	v_add_f16_e32 v38, v69, v38
	v_fma_f16 v26, v42, 0xbbad, -v26
	v_fmamk_f16 v69, v41, 0xb08e, v78
	v_mul_f16_e32 v75, 0x3482, v14
	v_add_f16_e32 v43, v43, v0
	v_sub_f16_e32 v45, v71, v45
	v_fma_f16 v41, v41, 0xb08e, -v78
	v_pk_add_f16 v1, v6, v1
	v_mul_f16_e32 v72, 0xb93d, v39
	v_mul_f16_e32 v77, 0xb93d, v42
	v_add_f16_e32 v74, v96, v74
	v_add_f16_e32 v65, v92, v65
	v_fmac_f16_e32 v97, 0x3b47, v11
	v_add_f16_e32 v26, v26, v38
	v_add_f16_sdwa v38, v69, v0 dst_sel:DWORD dst_unused:UNUSED_PAD src0_sel:DWORD src1_sel:WORD_1
	v_fmamk_f16 v69, v39, 0xbbad, v75
	v_mul_f16_e32 v92, 0x3b47, v15
	v_fma_f16 v96, v18, 0x36a6, -v98
	v_mul_f16_sdwa v25, v10, v25 dst_sel:DWORD dst_unused:UNUSED_PAD src0_sel:WORD_1 src1_sel:DWORD
	v_add_f16_e32 v46, v46, v68
	v_add_f16_e32 v43, v45, v43
	v_sub_f16_e32 v44, v73, v44
	v_add_f16_sdwa v41, v41, v0 dst_sel:DWORD dst_unused:UNUSED_PAD src0_sel:DWORD src1_sel:WORD_1
	v_fma_f16 v9, v39, 0xbbad, -v75
	v_pk_add_f16 v1, v7, v1
	v_mul_f16_e32 v76, 0xbbad, v48
	v_mul_f16_e32 v100, 0xbbad, v18
	v_add_f16_e32 v65, v97, v65
	v_add_f16_e32 v38, v69, v38
	v_fmamk_f16 v69, v48, 0x36a6, v92
	v_add_f16_e32 v26, v96, v26
	v_mul_f16_e32 v96, 0xb853, v40
	v_fma_f16 v97, v35, 0xb08e, -v25
	v_mul_f16_sdwa v12, v14, v12 dst_sel:DWORD dst_unused:UNUSED_PAD src0_sel:WORD_1 src1_sel:DWORD
	v_add_f16_sdwa v46, v46, v0 dst_sel:DWORD dst_unused:UNUSED_PAD src0_sel:DWORD src1_sel:WORD_1
	v_add_f16_e32 v47, v47, v72
	v_add_f16_e32 v8, v44, v43
	v_fmac_f16_e32 v25, 0xb08e, v35
	v_sub_f16_e32 v43, v77, v50
	v_add_f16_e32 v6, v9, v41
	v_fma_f16 v9, v48, 0x36a6, -v92
	v_pk_add_f16 v1, v4, v1
	v_add_f16_e32 v38, v69, v38
	v_fmamk_f16 v68, v49, 0x3abb, v96
	v_add_f16_e32 v69, v97, v0
	v_fma_f16 v97, v36, 0xbbad, -v12
	v_mul_f16_sdwa v13, v15, v13 dst_sel:DWORD dst_unused:UNUSED_PAD src0_sel:WORD_1 src1_sel:DWORD
	v_add_f16_e32 v46, v47, v46
	v_add_f16_e32 v47, v53, v76
	v_mul_f16_e32 v53, 0xba0c, v11
	v_add_f16_e32 v25, v25, v0
	v_fmac_f16_e32 v12, 0xbbad, v36
	v_add_f16_e32 v8, v43, v8
	v_sub_f16_e32 v7, v100, v27
	v_add_f16_e32 v6, v9, v6
	v_fma_f16 v9, v49, 0x3abb, -v96
	v_pk_add_f16 v1, v5, v1
	v_mul_f16_e32 v95, 0xb08e, v49
	v_add_f16_e32 v38, v68, v38
	v_add_f16_e32 v68, v97, v69
	v_fma_f16 v69, v37, 0x36a6, -v13
	v_mul_f16_sdwa v23, v40, v23 dst_sel:DWORD dst_unused:UNUSED_PAD src0_sel:WORD_1 src1_sel:DWORD
	v_add_f16_e32 v12, v12, v25
	v_fmac_f16_e32 v13, 0x36a6, v37
	v_add_f16_e32 v4, v7, v8
	v_add_f16_e32 v6, v9, v6
	v_fma_f16 v7, v16, 0xb93d, -v53
	v_pk_mul_f16 v9, 0xbbad, v35 op_sel_hi:[0,1]
	v_pk_add_f16 v1, v2, v1
	v_mul_f16_e32 v101, 0x3abb, v16
	v_add_f16_e32 v46, v47, v46
	v_add_f16_e32 v47, v55, v95
	;; [unrolled: 1-line block ×3, first 2 shown]
	v_fma_f16 v69, v42, 0x3abb, -v23
	v_add_f16_e32 v12, v13, v12
	v_fmac_f16_e32 v23, 0x3abb, v42
	v_add_f16_e32 v2, v7, v6
	v_pk_fma_f16 v7, 0xb482, v10, v9 op_sel:[0,0,1] op_sel_hi:[0,1,0] neg_lo:[0,1,0] neg_hi:[0,1,0]
	v_pk_add_f16 v1, v3, v1
	v_pk_mul_f16 v3, 0x3abb, v36 op_sel_hi:[0,1]
	v_add_f16_e32 v46, v47, v46
	v_add_f16_e32 v47, v64, v101
	v_bfi_b32 v17, 0xffff, v51, v17
	v_alignbit_b32 v67, s0, v0, 16
	v_fmamk_f16 v55, v16, 0xb93d, v53
	v_add_f16_e32 v5, v23, v12
	v_alignbit_b32 v12, s0, v7, 16
	v_pk_fma_f16 v13, 0x3853, v14, v3 op_sel:[0,0,1] op_sel_hi:[0,1,0] neg_lo:[0,1,0] neg_hi:[0,1,0]
	v_pk_mul_f16 v16, 0xb93d, v37 op_sel_hi:[0,1]
	v_pk_fma_f16 v9, 0xb482, v10, v9 op_sel:[0,0,1] op_sel_hi:[0,1,0]
	v_add_f16_e32 v46, v47, v46
	v_bfi_b32 v47, 0xffff, v52, v58
	v_pk_add_f16 v8, v17, v0 op_sel:[0,1] op_sel_hi:[1,0]
	v_pk_add_f16 v1, v22, v1
	v_pk_add_f16 v12, v12, v0
	v_alignbit_b32 v10, s0, v13, 16
	v_pk_fma_f16 v17, 0xba0c, v15, v16 op_sel:[0,0,1] op_sel_hi:[0,1,0] neg_lo:[0,1,0] neg_hi:[0,1,0]
	v_pk_mul_f16 v22, 0x36a6, v42 op_sel_hi:[0,1]
	v_pk_add_f16 v7, v7, v67
	v_pk_add_f16 v0, v9, v0 op_sel:[0,1] op_sel_hi:[1,0]
	v_pk_fma_f16 v3, 0x3853, v14, v3 op_sel:[0,0,1] op_sel_hi:[0,1,0]
	v_bfi_b32 v51, 0xffff, v54, v63
	v_pk_add_f16 v6, v47, v8
	v_pk_add_f16 v9, v10, v12
	v_alignbit_b32 v10, s0, v17, 16
	v_pk_fma_f16 v12, 0x3b47, v40, v22 op_sel:[0,0,1] op_sel_hi:[0,1,0] neg_lo:[0,1,0] neg_hi:[0,1,0]
	v_pk_add_f16 v7, v13, v7
	v_pk_add_f16 v0, v3, v0
	v_pk_fma_f16 v3, 0xba0c, v15, v16 op_sel:[0,0,1] op_sel_hi:[0,1,0]
	v_pk_mul_f16 v13, 0xb08e, v18 op_sel_hi:[0,1]
	v_bfi_b32 v45, 0xffff, v56, v60
	v_pk_add_f16 v6, v51, v6
	v_mul_f16_sdwa v24, v11, v24 dst_sel:DWORD dst_unused:UNUSED_PAD src0_sel:WORD_1 src1_sel:DWORD
	v_pk_add_f16 v9, v10, v9
	v_alignbit_b32 v10, s0, v12, 16
	v_pk_add_f16 v7, v17, v7
	v_pk_add_f16 v0, v3, v0
	v_pk_fma_f16 v3, 0x3b47, v40, v22 op_sel:[0,0,1] op_sel_hi:[0,1,0]
	v_pk_fma_f16 v14, 0xbbeb, v11, v13 op_sel:[0,0,1] op_sel_hi:[0,1,0] neg_lo:[0,1,0] neg_hi:[0,1,0]
	v_bfi_b32 v19, 0xffff, v19, v62
	v_pk_add_f16 v6, v45, v6
	v_add_f16_e32 v68, v69, v68
	v_fma_f16 v69, v18, 0xb93d, -v24
	v_pk_add_f16 v9, v10, v9
	v_pk_add_f16 v7, v12, v7
	;; [unrolled: 1-line block ×3, first 2 shown]
	v_pk_fma_f16 v3, 0xbbeb, v11, v13 op_sel:[0,0,1] op_sel_hi:[0,1,0]
	v_alignbit_b32 v10, s0, v14, 16
	v_fmac_f16_e32 v24, 0xb93d, v18
	v_lshlrev_b32_e32 v8, 2, v93
	v_pk_add_f16 v6, v19, v6
	v_add_f16_e32 v38, v55, v38
	v_add_f16_e32 v55, v69, v68
	v_pk_add_f16 v7, v14, v7
	v_pk_add_f16 v0, v3, v0
	;; [unrolled: 1-line block ×3, first 2 shown]
	v_add_f16_e32 v5, v24, v5
	ds_write_b32 v8, v1
	v_alignbit_b32 v1, v46, v6, 16
	v_pack_b32_f16 v4, v4, v6
	v_pack_b32_f16 v6, v26, v65
	;; [unrolled: 1-line block ×3, first 2 shown]
	v_alignbit_b32 v7, v7, v0, 16
	v_pack_b32_f16 v0, v3, v0
	v_pack_b32_f16 v2, v5, v2
	;; [unrolled: 1-line block ×3, first 2 shown]
	v_perm_b32 v5, v59, v21, 0x5040100
	v_perm_b32 v10, v57, v20, 0x5040100
	ds_write2_b32 v8, v4, v1 offset0:1 offset1:2
	ds_write2_b32 v8, v9, v6 offset0:3 offset1:4
	ds_write2_b32 v8, v0, v7 offset0:5 offset1:6
	ds_write2_b32 v8, v3, v2 offset0:7 offset1:8
	ds_write2_b32 v8, v10, v5 offset0:9 offset1:10
.LBB0_7:
	s_or_b32 exec_lo, exec_lo, s0
	v_add_nc_u32_e32 v0, 0x200, v79
	v_add_nc_u32_e32 v1, 0x600, v79
	;; [unrolled: 1-line block ×3, first 2 shown]
	s_waitcnt lgkmcnt(0)
	s_barrier
	buffer_gl0_inv
	ds_read2_b32 v[22:23], v79 offset1:55
	v_add_nc_u32_e32 v3, 0xc00, v79
	ds_read2_b32 v[51:52], v0 offset0:103 offset1:158
	ds_read2_b32 v[49:50], v1 offset0:78 offset1:133
	v_add_nc_u32_e32 v0, 0x400, v79
	v_add_nc_u32_e32 v1, 0x1000, v79
	ds_read2_b32 v[55:56], v2 offset0:181 offset1:236
	ds_read2_b32 v[53:54], v3 offset0:156 offset1:211
	;; [unrolled: 1-line block ×7, first 2 shown]
	v_cmp_gt_u16_e64 s0, 11, v89
                                        ; implicit-def: $vgpr35
                                        ; implicit-def: $vgpr72
                                        ; implicit-def: $vgpr74
                                        ; implicit-def: $vgpr73
                                        ; implicit-def: $vgpr75
	s_and_saveexec_b32 s1, s0
	s_cbranch_execz .LBB0_9
; %bb.8:
	v_add_nc_u32_e32 v0, 0x340, v79
	v_add_nc_u32_e32 v1, 0xa80, v79
	ds_read2_b32 v[20:21], v0 offset0:12 offset1:243
	ds_read2_b32 v[35:36], v1 offset0:10 offset1:241
	ds_read_b32 v73, v79 offset:4576
	s_waitcnt lgkmcnt(2)
	v_lshrrev_b32_e32 v57, 16, v20
	v_lshrrev_b32_e32 v59, 16, v21
	s_waitcnt lgkmcnt(1)
	v_lshrrev_b32_e32 v72, 16, v35
	v_lshrrev_b32_e32 v74, 16, v36
	s_waitcnt lgkmcnt(0)
	v_lshrrev_b32_e32 v75, 16, v73
.LBB0_9:
	s_or_b32 exec_lo, exec_lo, s1
	v_mov_b32_e32 v0, 0xba2f
	v_add_co_u32 v41, s1, 0xdc, v89
	v_and_b32_e32 v1, 0xff, v89
	v_and_b32_e32 v2, 0xff, v61
	v_add_co_ci_u32_e64 v42, null, 0, 0, s1
	v_mul_u32_u24_sdwa v0, v41, v0 dst_sel:DWORD dst_unused:UNUSED_PAD src0_sel:WORD_0 src1_sel:DWORD
	v_mul_lo_u16 v1, 0x75, v1
	v_add_co_u32 v45, s1, 0x6e, v89
	v_add_co_ci_u32_e64 v46, null, 0, 0, s1
	v_lshrrev_b32_e32 v0, 19, v0
	v_lshrrev_b16 v4, 8, v1
	v_mul_lo_u16 v1, 0x75, v2
	v_and_b32_e32 v58, 0xff, v45
	v_add_co_u32 v43, s1, 0xa5, v89
	v_mul_lo_u16 v0, v0, 11
	v_sub_nc_u16 v2, v89, v4
	v_lshrrev_b16 v5, 8, v1
	v_mov_b32_e32 v60, 2
	s_waitcnt lgkmcnt(8)
	v_lshrrev_b32_e32 v107, 16, v51
	v_sub_nc_u16 v92, v41, v0
	v_lshrrev_b16 v0, 1, v2
	v_sub_nc_u16 v2, v61, v5
	s_waitcnt lgkmcnt(7)
	v_lshrrev_b32_e32 v108, 16, v49
	s_waitcnt lgkmcnt(6)
	v_lshrrev_b32_e32 v106, 16, v55
	v_lshlrev_b16 v1, 2, v92
	v_and_b32_e32 v6, 0x7f, v0
	v_lshrrev_b16 v7, 1, v2
	s_waitcnt lgkmcnt(5)
	v_lshrrev_b32_e32 v103, 16, v53
	v_lshrrev_b32_e32 v105, 16, v52
	v_lshlrev_b32_sdwa v0, v60, v1 dst_sel:DWORD dst_unused:UNUSED_PAD src0_sel:DWORD src1_sel:WORD_0
	v_add_nc_u16 v4, v6, v4
	v_and_b32_e32 v6, 0x7f, v7
	v_and_b32_e32 v7, 0xff, v43
	v_lshrrev_b32_e32 v102, 16, v50
	global_load_dwordx4 v[0:3], v0, s[2:3]
	v_lshrrev_b16 v66, 3, v4
	v_mul_lo_u16 v4, 0x75, v58
	v_add_nc_u16 v5, v6, v5
	v_lshrrev_b32_e32 v101, 16, v56
	v_lshrrev_b32_e32 v100, 16, v54
	v_mul_lo_u16 v6, v66, 11
	v_lshrrev_b16 v4, 8, v4
	v_lshrrev_b16 v64, 3, v5
	s_waitcnt lgkmcnt(3)
	v_lshrrev_b32_e32 v98, 16, v47
	s_waitcnt lgkmcnt(2)
	v_lshrrev_b32_e32 v99, 16, v39
	v_sub_nc_u16 v5, v89, v6
	v_mul_lo_u16 v6, 0x75, v7
	v_mul_lo_u16 v7, v64, 11
	v_sub_nc_u16 v8, v45, v4
	s_waitcnt lgkmcnt(1)
	v_lshrrev_b32_e32 v97, 16, v37
	v_and_b32_e32 v69, 0xff, v5
	v_lshrrev_b16 v5, 8, v6
	v_sub_nc_u16 v6, v61, v7
	v_lshrrev_b16 v7, 1, v8
	s_waitcnt lgkmcnt(0)
	v_lshrrev_b32_e32 v96, 16, v26
	v_lshlrev_b32_e32 v8, 4, v69
	v_sub_nc_u16 v9, v43, v5
	v_and_b32_e32 v67, 0xff, v6
	v_and_b32_e32 v6, 0x7f, v7
	v_lshrrev_b32_e32 v78, 16, v48
	global_load_dwordx4 v[16:19], v8, s[2:3]
	v_lshrrev_b16 v7, 1, v9
	v_lshlrev_b32_e32 v8, 4, v67
	v_add_nc_u16 v4, v6, v4
	v_lshrrev_b32_e32 v77, 16, v40
	v_lshrrev_b32_e32 v76, 16, v38
	v_and_b32_e32 v6, 0x7f, v7
	global_load_dwordx4 v[12:15], v8, s[2:3]
	v_lshrrev_b16 v65, 3, v4
	v_lshrrev_b32_e32 v117, 16, v27
	v_lshrrev_b32_e32 v71, 16, v22
	v_add_nc_u16 v4, v6, v5
	v_lshrrev_b32_e32 v70, 16, v23
	v_mul_lo_u16 v5, v65, 11
	v_lshrrev_b32_e32 v115, 16, v24
	v_lshrrev_b32_e32 v116, 16, v25
	v_lshrrev_b16 v62, 3, v4
	v_add_co_ci_u32_e64 v44, null, 0, 0, s1
	v_sub_nc_u16 v4, v45, v5
	v_mul_lo_u16 v5, v62, 11
	v_and_b32_e32 v68, 0xff, v4
	v_sub_nc_u16 v4, v43, v5
	v_lshlrev_b32_e32 v5, 4, v68
	v_and_b32_e32 v63, 0xff, v4
	global_load_dwordx4 v[8:11], v5, s[2:3]
	v_lshlrev_b32_e32 v4, 4, v63
	global_load_dwordx4 v[4:7], v4, s[2:3]
	s_waitcnt vmcnt(0)
	s_barrier
	buffer_gl0_inv
	v_mul_f16_sdwa v112, v21, v0 dst_sel:DWORD dst_unused:UNUSED_PAD src0_sel:DWORD src1_sel:WORD_1
	v_mul_f16_sdwa v104, v72, v1 dst_sel:DWORD dst_unused:UNUSED_PAD src0_sel:DWORD src1_sel:WORD_1
	v_mul_f16_sdwa v118, v74, v2 dst_sel:DWORD dst_unused:UNUSED_PAD src0_sel:DWORD src1_sel:WORD_1
	v_mul_f16_sdwa v95, v59, v0 dst_sel:DWORD dst_unused:UNUSED_PAD src0_sel:DWORD src1_sel:WORD_1
	v_mul_f16_sdwa v119, v75, v3 dst_sel:DWORD dst_unused:UNUSED_PAD src0_sel:DWORD src1_sel:WORD_1
	v_mul_f16_sdwa v109, v73, v3 dst_sel:DWORD dst_unused:UNUSED_PAD src0_sel:DWORD src1_sel:WORD_1
	v_fmac_f16_e32 v112, v59, v0
	v_fma_f16 v114, v35, v1, -v104
	v_fma_f16 v59, v36, v2, -v118
	v_mul_f16_sdwa v110, v35, v1 dst_sel:DWORD dst_unused:UNUSED_PAD src0_sel:DWORD src1_sel:WORD_1
	v_mul_f16_sdwa v111, v36, v2 dst_sel:DWORD dst_unused:UNUSED_PAD src0_sel:DWORD src1_sel:WORD_1
	v_fma_f16 v113, v21, v0, -v95
	v_fmac_f16_e32 v109, v75, v3
	v_fma_f16 v21, v73, v3, -v119
	v_add_f16_e32 v35, v114, v59
	v_fmac_f16_e32 v110, v72, v1
	v_fmac_f16_e32 v111, v74, v2
	v_sub_f16_e32 v72, v112, v109
	v_add_f16_e32 v36, v113, v21
	v_fma_f16 v95, -0.5, v35, v20
	v_sub_f16_e32 v73, v113, v114
	v_sub_f16_e32 v74, v21, v59
	;; [unrolled: 1-line block ×3, first 2 shown]
	v_fma_f16 v36, -0.5, v36, v20
	v_fmamk_f16 v104, v72, 0x3b9c, v95
	v_fmac_f16_e32 v95, 0xbb9c, v72
	v_add_f16_e32 v73, v73, v74
	v_mul_f16_sdwa v74, v107, v16 dst_sel:DWORD dst_unused:UNUSED_PAD src0_sel:DWORD src1_sel:WORD_1
	v_fmamk_f16 v35, v75, 0xbb9c, v36
	v_fmac_f16_e32 v36, 0x3b9c, v75
	v_mul_f16_sdwa v121, v51, v16 dst_sel:DWORD dst_unused:UNUSED_PAD src0_sel:DWORD src1_sel:WORD_1
	v_mul_f16_sdwa v122, v108, v17 dst_sel:DWORD dst_unused:UNUSED_PAD src0_sel:DWORD src1_sel:WORD_1
	;; [unrolled: 1-line block ×11, first 2 shown]
	v_fmac_f16_e32 v104, 0x38b4, v75
	v_fmac_f16_e32 v95, 0xb8b4, v75
	v_mul_f16_sdwa v75, v56, v14 dst_sel:DWORD dst_unused:UNUSED_PAD src0_sel:DWORD src1_sel:WORD_1
	v_mul_f16_sdwa v134, v54, v15 dst_sel:DWORD dst_unused:UNUSED_PAD src0_sel:DWORD src1_sel:WORD_1
	;; [unrolled: 1-line block ×4, first 2 shown]
	v_fmac_f16_e32 v121, v107, v16
	v_fmac_f16_e32 v123, v108, v17
	v_fma_f16 v51, v51, v16, -v74
	v_fma_f16 v49, v49, v17, -v122
	;; [unrolled: 1-line block ×3, first 2 shown]
	v_fmac_f16_e32 v125, v106, v18
	v_fma_f16 v53, v53, v19, -v126
	v_fmac_f16_e32 v127, v103, v19
	v_fma_f16 v52, v52, v12, -v128
	;; [unrolled: 2-line block ×3, first 2 shown]
	v_fmac_f16_e32 v131, v102, v13
	v_fmac_f16_e32 v75, v101, v14
	;; [unrolled: 1-line block ×3, first 2 shown]
	v_mul_f16_sdwa v74, v98, v8 dst_sel:DWORD dst_unused:UNUSED_PAD src0_sel:DWORD src1_sel:WORD_1
	v_mul_f16_sdwa v100, v47, v8 dst_sel:DWORD dst_unused:UNUSED_PAD src0_sel:DWORD src1_sel:WORD_1
	;; [unrolled: 1-line block ×10, first 2 shown]
	v_fma_f16 v56, v56, v14, -v132
	v_fma_f16 v54, v54, v15, -v133
	v_mul_f16_sdwa v102, v39, v9 dst_sel:DWORD dst_unused:UNUSED_PAD src0_sel:DWORD src1_sel:WORD_1
	v_mul_f16_sdwa v107, v26, v11 dst_sel:DWORD dst_unused:UNUSED_PAD src0_sel:DWORD src1_sel:WORD_1
	v_mul_f16_sdwa v124, v77, v5 dst_sel:DWORD dst_unused:UNUSED_PAD src0_sel:DWORD src1_sel:WORD_1
	v_mul_f16_sdwa v128, v76, v6 dst_sel:DWORD dst_unused:UNUSED_PAD src0_sel:DWORD src1_sel:WORD_1
	v_mul_f16_sdwa v132, v117, v7 dst_sel:DWORD dst_unused:UNUSED_PAD src0_sel:DWORD src1_sel:WORD_1
	v_mul_f16_sdwa v133, v27, v7 dst_sel:DWORD dst_unused:UNUSED_PAD src0_sel:DWORD src1_sel:WORD_1
	v_fmac_f16_e32 v100, v98, v8
	v_fma_f16 v47, v47, v8, -v74
	v_fma_f16 v39, v39, v9, -v101
	;; [unrolled: 1-line block ×3, first 2 shown]
	v_fmac_f16_e32 v105, v97, v10
	v_fma_f16 v26, v26, v11, -v106
	v_fma_f16 v48, v48, v4, -v108
	v_fmac_f16_e32 v122, v78, v4
	v_fmac_f16_e32 v126, v77, v5
	;; [unrolled: 1-line block ×3, first 2 shown]
	v_sub_f16_e32 v74, v51, v49
	v_sub_f16_e32 v76, v53, v55
	;; [unrolled: 1-line block ×4, first 2 shown]
	v_add_f16_e32 v97, v123, v125
	v_sub_f16_e32 v103, v123, v121
	v_sub_f16_e32 v106, v125, v127
	v_add_f16_e32 v108, v23, v52
	v_sub_f16_e32 v137, v129, v131
	v_sub_f16_e32 v138, v134, v75
	v_fmac_f16_e32 v102, v99, v9
	v_fmac_f16_e32 v107, v96, v11
	v_fma_f16 v40, v40, v5, -v124
	v_fma_f16 v38, v38, v6, -v128
	;; [unrolled: 1-line block ×3, first 2 shown]
	v_fmac_f16_e32 v133, v117, v7
	v_add_f16_e32 v96, v71, v121
	v_sub_f16_e32 v98, v121, v123
	v_sub_f16_e32 v99, v127, v125
	v_add_f16_e32 v101, v121, v127
	v_add_f16_e32 v117, v50, v56
	v_sub_f16_e32 v124, v52, v50
	v_sub_f16_e32 v128, v54, v56
	v_add_f16_e32 v132, v52, v54
	v_sub_f16_e32 v135, v50, v52
	v_sub_f16_e32 v136, v56, v54
	v_add_f16_e32 v139, v131, v75
	v_add_f16_e32 v141, v70, v129
	v_sub_f16_e32 v142, v131, v129
	v_sub_f16_e32 v143, v75, v134
	v_add_f16_e32 v144, v22, v51
	v_add_f16_e32 v145, v49, v55
	v_sub_f16_e32 v149, v50, v56
	v_add_f16_e32 v150, v51, v53
	v_add_f16_e32 v74, v74, v76
	;; [unrolled: 1-line block ×3, first 2 shown]
	v_fma_f16 v78, -0.5, v97, v71
	v_add_f16_e32 v97, v103, v106
	v_add_f16_e32 v103, v137, v138
	;; [unrolled: 1-line block ×7, first 2 shown]
	v_sub_f16_e32 v146, v49, v55
	v_sub_f16_e32 v147, v123, v125
	v_add_f16_e32 v77, v98, v99
	v_fmac_f16_e32 v71, -0.5, v101
	v_add_f16_e32 v98, v124, v128
	v_fma_f16 v101, -0.5, v117, v23
	v_fmac_f16_e32 v23, -0.5, v132
	v_add_f16_e32 v99, v135, v136
	v_fma_f16 v106, -0.5, v139, v70
	v_add_f16_e32 v117, v142, v143
	v_add_f16_e32 v49, v144, v49
	;; [unrolled: 1-line block ×4, first 2 shown]
	v_sub_f16_e32 v123, v47, v39
	v_sub_f16_e32 v124, v26, v37
	;; [unrolled: 1-line block ×3, first 2 shown]
	v_add_f16_e32 v136, v102, v105
	v_add_f16_e32 v137, v100, v107
	v_sub_f16_e32 v139, v102, v100
	v_sub_f16_e32 v141, v48, v40
	;; [unrolled: 1-line block ×3, first 2 shown]
	v_fma_f16 v145, -0.5, v145, v22
	v_fma_f16 v22, -0.5, v150, v22
	v_add_f16_e32 v150, v24, v47
	v_sub_f16_e32 v163, v102, v105
	v_add_f16_e32 v50, v50, v56
	v_add_f16_e32 v102, v138, v102
	v_fma_f16 v138, -0.5, v161, v24
	v_fma_f16 v24, -0.5, v166, v24
	v_sub_f16_e32 v148, v131, v75
	v_sub_f16_e32 v51, v51, v53
	;; [unrolled: 1-line block ×3, first 2 shown]
	v_fmac_f16_e32 v70, -0.5, v140
	v_sub_f16_e32 v128, v39, v47
	v_sub_f16_e32 v131, v37, v26
	;; [unrolled: 1-line block ×4, first 2 shown]
	v_add_f16_e32 v143, v40, v38
	v_add_f16_e32 v156, v126, v130
	;; [unrolled: 1-line block ×3, first 2 shown]
	v_sub_f16_e32 v162, v39, v37
	v_sub_f16_e32 v100, v100, v107
	v_add_f16_e32 v49, v49, v55
	v_add_f16_e32 v55, v96, v125
	;; [unrolled: 1-line block ×4, first 2 shown]
	v_fma_f16 v123, -0.5, v136, v115
	v_fmac_f16_e32 v115, -0.5, v137
	v_add_f16_e32 v125, v141, v142
	v_fmamk_f16 v141, v146, 0x3b9c, v71
	v_fmac_f16_e32 v71, 0xbb9c, v146
	v_add_f16_e32 v39, v150, v39
	v_add_f16_e32 v50, v50, v54
	v_fmamk_f16 v54, v163, 0xbb9c, v24
	v_fmac_f16_e32 v24, 0x3b9c, v163
	v_add_f16_e32 v151, v25, v48
	v_add_f16_e32 v158, v116, v122
	;; [unrolled: 1-line block ×3, first 2 shown]
	v_sub_f16_e32 v129, v129, v134
	v_sub_f16_e32 v164, v40, v38
	;; [unrolled: 1-line block ×3, first 2 shown]
	v_add_f16_e32 v96, v128, v131
	v_add_f16_e32 v108, v132, v135
	;; [unrolled: 1-line block ×3, first 2 shown]
	v_fma_f16 v128, -0.5, v143, v25
	v_fma_f16 v135, -0.5, v156, v116
	v_fmac_f16_e32 v116, -0.5, v157
	v_fmamk_f16 v140, v51, 0xbb9c, v78
	v_fmac_f16_e32 v78, 0x3b9c, v51
	v_fmamk_f16 v143, v148, 0xbb9c, v23
	v_fmac_f16_e32 v23, 0x3b9c, v148
	v_fmac_f16_e32 v141, 0xb8b4, v51
	;; [unrolled: 1-line block ×3, first 2 shown]
	v_add_f16_e32 v51, v56, v134
	v_add_f16_e32 v37, v39, v37
	;; [unrolled: 1-line block ×3, first 2 shown]
	v_fmamk_f16 v56, v162, 0x3b9c, v115
	v_fmac_f16_e32 v115, 0xbb9c, v162
	v_fmac_f16_e32 v54, 0x38b4, v100
	;; [unrolled: 1-line block ×3, first 2 shown]
	v_sub_f16_e32 v152, v40, v48
	v_sub_f16_e32 v154, v122, v126
	;; [unrolled: 1-line block ×4, first 2 shown]
	v_add_f16_e32 v40, v151, v40
	v_add_f16_e32 v126, v158, v126
	v_sub_f16_e32 v121, v121, v127
	v_add_f16_e32 v144, v48, v27
	v_sub_f16_e32 v48, v48, v27
	v_fmamk_f16 v142, v129, 0x3b9c, v101
	v_fmac_f16_e32 v101, 0xbb9c, v129
	v_add_f16_e32 v49, v49, v53
	v_add_f16_e32 v53, v55, v127
	v_fmac_f16_e32 v143, 0x38b4, v129
	v_fmac_f16_e32 v23, 0xb8b4, v129
	v_fmamk_f16 v55, v47, 0xbb9c, v123
	v_fmac_f16_e32 v123, 0x3b9c, v47
	v_fmamk_f16 v129, v164, 0x3b9c, v116
	v_fmac_f16_e32 v116, 0xbb9c, v164
	v_add_f16_e32 v26, v37, v26
	v_add_f16_e32 v37, v39, v107
	v_fmac_f16_e32 v56, 0xb8b4, v47
	v_fmac_f16_e32 v115, 0x38b4, v47
	;; [unrolled: 1-line block ×4, first 2 shown]
	v_fma_f16 v96, -0.5, v120, v57
	v_sub_f16_e32 v39, v113, v21
	v_add_f16_e32 v47, v112, v109
	v_sub_f16_e32 v118, v114, v113
	v_sub_f16_e32 v119, v59, v21
	;; [unrolled: 1-line block ×3, first 2 shown]
	v_add_f16_e32 v38, v40, v38
	v_add_f16_e32 v40, v126, v130
	v_fmamk_f16 v137, v121, 0x3b9c, v145
	v_fmamk_f16 v127, v48, 0xbb9c, v135
	v_fmac_f16_e32 v135, 0x3b9c, v48
	v_fmac_f16_e32 v141, 0x34f2, v97
	;; [unrolled: 1-line block ×5, first 2 shown]
	v_fmamk_f16 v105, v39, 0xbb9c, v96
	v_sub_f16_e32 v48, v114, v59
	v_fma_f16 v97, -0.5, v47, v57
	v_fmac_f16_e32 v96, 0x3b9c, v39
	v_fmac_f16_e32 v104, 0x34f2, v73
	v_fmamk_f16 v139, v147, 0xbb9c, v22
	v_fmac_f16_e32 v22, 0x3b9c, v147
	v_add_f16_e32 v27, v38, v27
	v_add_f16_e32 v38, v40, v133
	v_fmac_f16_e32 v95, 0x34f2, v73
	v_fmac_f16_e32 v35, 0x38b4, v72
	v_add_f16_e32 v40, v118, v119
	v_fmac_f16_e32 v36, 0xb8b4, v72
	v_sub_f16_e32 v72, v112, v110
	v_sub_f16_e32 v73, v109, v111
	v_fmac_f16_e32 v145, 0xbb9c, v121
	v_fmac_f16_e32 v25, -0.5, v144
	v_fmamk_f16 v144, v52, 0xbb9c, v106
	v_fmac_f16_e32 v137, 0x38b4, v147
	v_fmac_f16_e32 v140, 0xb8b4, v146
	;; [unrolled: 1-line block ×5, first 2 shown]
	v_fmamk_f16 v99, v48, 0x3b9c, v97
	v_fmac_f16_e32 v97, 0xbb9c, v48
	v_fmac_f16_e32 v96, 0x38b4, v48
	v_mov_b32_e32 v48, 55
	v_add_f16_e32 v131, v152, v153
	v_fmamk_f16 v152, v149, 0x3b9c, v70
	v_fmac_f16_e32 v70, 0xbb9c, v149
	v_fmac_f16_e32 v139, 0x38b4, v121
	;; [unrolled: 1-line block ×5, first 2 shown]
	v_add_f16_e32 v40, v72, v73
	v_sub_f16_e32 v47, v110, v112
	v_sub_f16_e32 v72, v111, v109
	v_fmac_f16_e32 v106, 0x3b9c, v52
	v_fmac_f16_e32 v145, 0xb8b4, v147
	;; [unrolled: 1-line block ×9, first 2 shown]
	v_mul_u32_u24_sdwa v39, v66, v48 dst_sel:DWORD dst_unused:UNUSED_PAD src0_sel:WORD_0 src1_sel:DWORD
	v_fmac_f16_e32 v152, 0xb8b4, v52
	v_fmac_f16_e32 v70, 0x38b4, v52
	v_fmamk_f16 v52, v100, 0x3b9c, v138
	v_fmac_f16_e32 v139, 0x34f2, v76
	v_fmac_f16_e32 v22, 0x34f2, v76
	v_add_f16_e32 v47, v47, v72
	v_sub_f16_e32 v122, v122, v133
	v_fmac_f16_e32 v101, 0xb8b4, v148
	v_fmac_f16_e32 v106, 0x38b4, v149
	;; [unrolled: 1-line block ×9, first 2 shown]
	v_add_lshl_u32 v100, v39, v69, 2
	v_pack_b32_f16 v39, v49, v53
	v_pack_b32_f16 v40, v137, v140
	v_mul_u32_u24_sdwa v53, v64, v48 dst_sel:DWORD dst_unused:UNUSED_PAD src0_sel:WORD_0 src1_sel:DWORD
	v_fmac_f16_e32 v152, 0x34f2, v117
	v_fmac_f16_e32 v70, 0x34f2, v117
	;; [unrolled: 1-line block ×6, first 2 shown]
	v_pack_b32_f16 v47, v139, v141
	v_pack_b32_f16 v22, v22, v71
	v_sub_f16_e32 v155, v133, v130
	v_fmamk_f16 v121, v122, 0x3b9c, v128
	v_fmac_f16_e32 v101, 0x34f2, v98
	v_fmac_f16_e32 v106, 0x34f2, v103
	v_pack_b32_f16 v49, v145, v78
	v_sub_f16_e32 v160, v130, v133
	v_fmamk_f16 v126, v165, 0xbb9c, v25
	v_fmac_f16_e32 v25, 0x3b9c, v165
	v_fmac_f16_e32 v128, 0xbb9c, v122
	ds_write2_b32 v100, v39, v40 offset1:11
	ds_write2_b32 v100, v47, v22 offset0:22 offset1:33
	ds_write_b32 v100, v49 offset:176
	v_add_lshl_u32 v102, v53, v67, 2
	v_pack_b32_f16 v22, v50, v51
	v_pack_b32_f16 v40, v142, v144
	v_fmac_f16_e32 v138, 0xb8b4, v163
	v_fmac_f16_e32 v123, 0x38b4, v162
	;; [unrolled: 1-line block ×4, first 2 shown]
	v_mul_u32_u24_sdwa v39, v65, v48 dst_sel:DWORD dst_unused:UNUSED_PAD src0_sel:WORD_0 src1_sel:DWORD
	v_pack_b32_f16 v47, v143, v152
	v_pack_b32_f16 v23, v23, v70
	v_add_f16_e32 v132, v154, v155
	v_fmac_f16_e32 v121, 0x38b4, v165
	v_fmac_f16_e32 v127, 0xb8b4, v164
	v_pack_b32_f16 v49, v101, v106
	v_add_f16_e32 v136, v159, v160
	v_fmac_f16_e32 v126, 0x38b4, v122
	v_fmac_f16_e32 v25, 0xb8b4, v122
	;; [unrolled: 1-line block ×6, first 2 shown]
	ds_write2_b32 v102, v22, v40 offset1:11
	ds_write2_b32 v102, v47, v23 offset0:22 offset1:33
	ds_write_b32 v102, v49 offset:176
	v_mul_u32_u24_sdwa v22, v62, v48 dst_sel:DWORD dst_unused:UNUSED_PAD src0_sel:WORD_0 src1_sel:DWORD
	v_fmac_f16_e32 v138, 0x34f2, v75
	v_fmac_f16_e32 v123, 0x34f2, v108
	v_add_lshl_u32 v101, v39, v68, 2
	v_pack_b32_f16 v26, v26, v37
	v_pack_b32_f16 v37, v52, v55
	v_fmac_f16_e32 v121, 0x34f2, v125
	v_fmac_f16_e32 v127, 0x34f2, v132
	;; [unrolled: 1-line block ×8, first 2 shown]
	v_pack_b32_f16 v23, v54, v56
	v_pack_b32_f16 v24, v24, v115
	v_add_lshl_u32 v103, v22, v63, 2
	ds_write2_b32 v101, v26, v37 offset1:11
	v_pack_b32_f16 v26, v138, v123
	v_pack_b32_f16 v22, v27, v38
	;; [unrolled: 1-line block ×6, first 2 shown]
	ds_write2_b32 v101, v23, v24 offset0:22 offset1:33
	ds_write_b32 v101, v26 offset:176
	ds_write2_b32 v103, v22, v27 offset1:11
	ds_write2_b32 v103, v37, v25 offset0:22 offset1:33
	ds_write_b32 v103, v38 offset:176
	s_and_saveexec_b32 s1, s0
	s_cbranch_execz .LBB0_11
; %bb.10:
	v_add_f16_e32 v22, v57, v112
	v_add_f16_e32 v20, v20, v113
	v_lshlrev_b32_sdwa v23, v60, v92 dst_sel:DWORD dst_unused:UNUSED_PAD src0_sel:DWORD src1_sel:WORD_0
	v_perm_b32 v24, v99, v35, 0x5040100
	v_perm_b32 v25, v97, v36, 0x5040100
	v_add_f16_e32 v22, v22, v110
	v_add_f16_e32 v20, v20, v114
	v_add_nc_u32_e32 v26, 0x1000, v23
	v_add_f16_e32 v22, v22, v111
	v_add_f16_e32 v20, v20, v59
	;; [unrolled: 1-line block ×4, first 2 shown]
	v_perm_b32 v21, v105, v104, 0x5040100
	v_pack_b32_f16 v20, v20, v22
	v_perm_b32 v22, v96, v95, 0x5040100
	ds_write2_b32 v26, v24, v25 offset0:98 offset1:109
	ds_write2_b32 v26, v20, v21 offset0:76 offset1:87
	ds_write_b32 v23, v22 offset:4576
.LBB0_11:
	s_or_b32 exec_lo, exec_lo, s1
	v_mad_u64_u32 v[24:25], null, v89, 24, s[2:3]
	s_waitcnt lgkmcnt(0)
	s_barrier
	buffer_gl0_inv
	v_add_nc_u32_e32 v72, 0x400, v79
	v_add_nc_u32_e32 v63, 0x800, v79
	;; [unrolled: 1-line block ×3, first 2 shown]
	s_clause 0x1
	global_load_dwordx4 v[20:23], v[24:25], off offset:176
	global_load_dwordx2 v[37:38], v[24:25], off offset:192
	v_mul_lo_u16 v24, 0x95, v58
	v_add_nc_u32_e32 v62, 0xe00, v79
	v_add_nc_u32_e32 v71, 0x200, v79
	v_lshlrev_b32_e32 v64, 3, v89
	v_lshlrev_b64 v[41:42], 3, v[41:42]
	v_lshrrev_b16 v24, 13, v24
	v_mul_lo_u16 v24, v24, 55
	v_sub_nc_u16 v24, v45, v24
	v_lshlrev_b64 v[45:46], 3, v[45:46]
	v_and_b32_e32 v70, 0xff, v24
	v_add_co_u32 v45, s1, s2, v45
	v_add_co_ci_u32_e64 v46, s1, s3, v46, s1
	v_mad_u64_u32 v[39:40], null, v70, 24, s[2:3]
	v_lshlrev_b32_e32 v98, 2, v70
	s_clause 0x1
	global_load_dwordx4 v[24:27], v[39:40], off offset:176
	global_load_dwordx2 v[39:40], v[39:40], off offset:192
	ds_read2_b32 v[47:48], v79 offset0:110 offset1:165
	ds_read_b32 v65, v79 offset:4400
	ds_read2_b32 v[66:67], v72 offset0:74 offset1:129
	ds_read2_b32 v[51:52], v72 offset0:184 offset1:239
	;; [unrolled: 1-line block ×8, first 2 shown]
	ds_read2_b32 v[59:60], v79 offset1:55
	s_waitcnt vmcnt(0) lgkmcnt(0)
	s_barrier
	buffer_gl0_inv
	v_add_nc_u32_e32 v120, 0xc00, v98
	v_add_nc_u32_e32 v121, 0xe00, v98
	v_lshrrev_b32_e32 v76, 16, v65
	v_lshrrev_b32_e32 v78, 16, v66
	;; [unrolled: 1-line block ×18, first 2 shown]
	v_mul_f16_sdwa v122, v75, v20 dst_sel:DWORD dst_unused:UNUSED_PAD src0_sel:DWORD src1_sel:WORD_1
	v_mul_f16_sdwa v123, v48, v20 dst_sel:DWORD dst_unused:UNUSED_PAD src0_sel:DWORD src1_sel:WORD_1
	;; [unrolled: 1-line block ×24, first 2 shown]
	v_fma_f16 v48, v48, v20, -v122
	v_fmac_f16_e32 v123, v75, v20
	v_fma_f16 v66, v66, v21, -v124
	v_fmac_f16_e32 v125, v78, v21
	;; [unrolled: 2-line block ×12, first 2 shown]
	v_add_f16_e32 v75, v48, v73
	v_add_f16_e32 v78, v123, v133
	v_sub_f16_e32 v48, v48, v73
	v_sub_f16_e32 v73, v123, v133
	v_add_f16_e32 v106, v66, v50
	v_add_f16_e32 v107, v125, v131
	v_sub_f16_e32 v50, v66, v50
	v_sub_f16_e32 v66, v125, v131
	v_add_f16_e32 v108, v52, v68
	v_add_f16_e32 v109, v127, v129
	v_sub_f16_e32 v52, v68, v52
	v_sub_f16_e32 v68, v129, v127
	v_add_f16_e32 v110, v57, v74
	v_add_f16_e32 v111, v135, v145
	;; [unrolled: 1-line block ×4, first 2 shown]
	v_sub_f16_e32 v57, v57, v74
	v_sub_f16_e32 v74, v135, v145
	;; [unrolled: 1-line block ×4, first 2 shown]
	v_add_f16_e32 v114, v55, v69
	v_add_f16_e32 v115, v139, v141
	v_sub_f16_e32 v55, v69, v55
	v_sub_f16_e32 v69, v141, v139
	v_add_f16_e32 v122, v106, v75
	v_add_f16_e32 v123, v107, v78
	v_sub_f16_e32 v124, v106, v75
	v_sub_f16_e32 v125, v107, v78
	v_sub_f16_e32 v75, v75, v108
	v_sub_f16_e32 v78, v78, v109
	v_sub_f16_e32 v106, v108, v106
	v_sub_f16_e32 v107, v109, v107
	v_add_f16_e32 v126, v52, v50
	v_add_f16_e32 v127, v68, v66
	v_sub_f16_e32 v128, v52, v50
	v_sub_f16_e32 v129, v68, v66
	v_sub_f16_e32 v50, v50, v48
	v_sub_f16_e32 v66, v66, v73
	v_add_f16_e32 v130, v112, v110
	v_add_f16_e32 v131, v113, v111
	v_sub_f16_e32 v52, v48, v52
	v_sub_f16_e32 v68, v73, v68
	;; [unrolled: 1-line block ×8, first 2 shown]
	v_add_f16_e32 v134, v55, v53
	v_add_f16_e32 v135, v69, v67
	v_sub_f16_e32 v136, v55, v53
	v_sub_f16_e32 v137, v69, v67
	v_sub_f16_e32 v53, v53, v57
	v_sub_f16_e32 v67, v67, v74
	v_add_f16_e32 v108, v108, v122
	v_add_f16_e32 v109, v109, v123
	;; [unrolled: 1-line block ×4, first 2 shown]
	v_mul_f16_e32 v75, 0x3a52, v75
	v_mul_f16_e32 v78, 0x3a52, v78
	;; [unrolled: 1-line block ×8, first 2 shown]
	v_add_f16_e32 v114, v114, v130
	v_add_f16_e32 v115, v115, v131
	v_sub_f16_e32 v55, v57, v55
	v_sub_f16_e32 v69, v74, v69
	v_add_f16_e32 v57, v134, v57
	v_add_f16_e32 v74, v135, v74
	v_mul_f16_e32 v110, 0x3a52, v110
	v_mul_f16_e32 v111, 0x3a52, v111
	;; [unrolled: 1-line block ×8, first 2 shown]
	v_mul_f16_sdwa v138, v116, v24 dst_sel:DWORD dst_unused:UNUSED_PAD src0_sel:DWORD src1_sel:WORD_1
	v_mul_f16_sdwa v139, v58, v24 dst_sel:DWORD dst_unused:UNUSED_PAD src0_sel:DWORD src1_sel:WORD_1
	;; [unrolled: 1-line block ×8, first 2 shown]
	v_add_f16_e32 v150, v59, v108
	v_add_f16_sdwa v59, v59, v109 dst_sel:DWORD dst_unused:UNUSED_PAD src0_sel:WORD_1 src1_sel:DWORD
	v_fmamk_f16 v106, v106, 0x2b26, v75
	v_fmamk_f16 v107, v107, 0x2b26, v78
	v_fma_f16 v122, v124, 0x39e0, -v122
	v_fma_f16 v123, v125, 0x39e0, -v123
	;; [unrolled: 1-line block ×4, first 2 shown]
	v_fmamk_f16 v124, v52, 0x3574, v126
	v_fmamk_f16 v125, v68, 0x3574, v127
	v_fma_f16 v50, v50, 0x3b00, -v126
	v_fma_f16 v66, v66, 0x3b00, -v127
	;; [unrolled: 1-line block ×4, first 2 shown]
	v_add_f16_e32 v126, v60, v114
	v_add_f16_sdwa v60, v60, v115 dst_sel:DWORD dst_unused:UNUSED_PAD src0_sel:WORD_1 src1_sel:DWORD
	v_mul_f16_sdwa v142, v117, v26 dst_sel:DWORD dst_unused:UNUSED_PAD src0_sel:DWORD src1_sel:WORD_1
	v_mul_f16_sdwa v143, v56, v26 dst_sel:DWORD dst_unused:UNUSED_PAD src0_sel:DWORD src1_sel:WORD_1
	;; [unrolled: 1-line block ×4, first 2 shown]
	v_fmamk_f16 v112, v112, 0x2b26, v110
	v_fmamk_f16 v113, v113, 0x2b26, v111
	v_fma_f16 v127, v132, 0x39e0, -v130
	v_fma_f16 v128, v133, 0x39e0, -v131
	;; [unrolled: 1-line block ×4, first 2 shown]
	v_fmamk_f16 v129, v55, 0x3574, v134
	v_fmamk_f16 v130, v69, 0x3574, v135
	v_fma_f16 v53, v53, 0x3b00, -v134
	v_fma_f16 v67, v67, 0x3b00, -v135
	;; [unrolled: 1-line block ×5, first 2 shown]
	v_fmac_f16_e32 v139, v116, v24
	v_fma_f16 v51, v51, v25, -v140
	v_fmac_f16_e32 v141, v70, v25
	v_fma_f16 v54, v54, v39, -v146
	;; [unrolled: 2-line block ×3, first 2 shown]
	v_fmac_f16_e32 v149, v76, v40
	v_fmamk_f16 v70, v108, 0xbcab, v150
	v_fmamk_f16 v76, v109, 0xbcab, v59
	v_fmac_f16_e32 v124, 0x370e, v48
	v_fmac_f16_e32 v125, 0x370e, v73
	;; [unrolled: 1-line block ×6, first 2 shown]
	v_fmamk_f16 v48, v114, 0xbcab, v126
	v_fmamk_f16 v73, v115, 0xbcab, v60
	v_fma_f16 v56, v56, v26, -v142
	v_fmac_f16_e32 v143, v117, v26
	v_fma_f16 v49, v49, v27, -v144
	v_fmac_f16_e32 v145, v118, v27
	v_fmac_f16_e32 v129, 0x370e, v57
	;; [unrolled: 1-line block ×7, first 2 shown]
	v_pack_b32_f16 v57, v150, v59
	v_pack_b32_f16 v59, v126, v60
	v_add_f16_e32 v60, v106, v70
	v_add_f16_e32 v74, v107, v76
	;; [unrolled: 1-line block ×16, first 2 shown]
	v_sub_f16_e32 v51, v51, v54
	v_sub_f16_e32 v54, v141, v147
	v_add_f16_e32 v114, v56, v49
	v_add_f16_e32 v115, v143, v145
	v_sub_f16_e32 v49, v49, v56
	v_sub_f16_e32 v56, v145, v143
	;; [unrolled: 1-line block ×3, first 2 shown]
	v_add_f16_e32 v118, v68, v70
	v_sub_f16_e32 v119, v75, v52
	v_sub_f16_e32 v122, v106, v66
	v_add_f16_e32 v123, v50, v107
	v_add_f16_e32 v66, v66, v106
	v_sub_f16_e32 v50, v107, v50
	v_sub_f16_e32 v68, v70, v68
	v_add_f16_e32 v52, v52, v75
	v_add_f16_e32 v70, v124, v74
	;; [unrolled: 1-line block ×3, first 2 shown]
	v_sub_f16_e32 v75, v78, v129
	v_add_f16_e32 v106, v69, v48
	v_sub_f16_e32 v107, v73, v55
	v_sub_f16_e32 v48, v48, v69
	v_add_f16_e32 v55, v55, v73
	v_sub_f16_e32 v69, v76, v130
	v_add_f16_e32 v73, v129, v78
	v_add_f16_e32 v76, v112, v110
	;; [unrolled: 1-line block ×3, first 2 shown]
	v_sub_f16_e32 v58, v58, v65
	v_sub_f16_e32 v65, v139, v149
	v_add_f16_e32 v116, v125, v60
	v_sub_f16_e32 v60, v60, v125
	v_sub_f16_e32 v124, v108, v67
	v_add_f16_e32 v125, v53, v109
	v_add_f16_e32 v67, v67, v108
	v_sub_f16_e32 v53, v109, v53
	v_sub_f16_e32 v108, v112, v110
	;; [unrolled: 1-line block ×7, first 2 shown]
	v_add_f16_e32 v126, v49, v51
	v_add_f16_e32 v127, v56, v54
	v_sub_f16_e32 v128, v49, v51
	v_sub_f16_e32 v129, v56, v54
	v_add_f16_e32 v76, v114, v76
	v_add_f16_e32 v78, v115, v78
	v_sub_f16_e32 v51, v51, v58
	v_sub_f16_e32 v54, v54, v65
	;; [unrolled: 1-line block ×4, first 2 shown]
	v_add_f16_e32 v58, v126, v58
	v_add_f16_e32 v65, v127, v65
	v_mul_f16_e32 v110, 0x3a52, v110
	v_mul_f16_e32 v111, 0x3a52, v111
	;; [unrolled: 1-line block ×6, first 2 shown]
	v_pack_b32_f16 v116, v116, v117
	v_pack_b32_f16 v53, v67, v53
	v_add_f16_e32 v67, v47, v76
	v_add_f16_sdwa v47, v47, v78 dst_sel:DWORD dst_unused:UNUSED_PAD src0_sel:WORD_1 src1_sel:DWORD
	v_mul_f16_e32 v128, 0x3b00, v51
	v_mul_f16_e32 v129, 0x3b00, v54
	v_pack_b32_f16 v117, v118, v119
	v_pack_b32_f16 v118, v122, v123
	;; [unrolled: 1-line block ×10, first 2 shown]
	v_fmamk_f16 v69, v112, 0x2b26, v110
	v_fmamk_f16 v73, v113, 0x2b26, v111
	v_fma_f16 v74, v108, 0x39e0, -v114
	v_fma_f16 v75, v109, 0x39e0, -v115
	;; [unrolled: 1-line block ×4, first 2 shown]
	v_fmamk_f16 v108, v49, 0x3574, v126
	v_fmamk_f16 v109, v56, 0x3574, v127
	ds_write2_b32 v79, v57, v116 offset1:55
	ds_write2_b32 v79, v117, v118 offset0:110 offset1:165
	ds_write2_b32 v71, v50, v52 offset0:92 offset1:147
	;; [unrolled: 1-line block ×5, first 2 shown]
	v_fmamk_f16 v50, v76, 0xbcab, v67
	v_fmamk_f16 v52, v78, 0xbcab, v47
	v_fma_f16 v51, v51, 0x3b00, -v126
	v_fma_f16 v54, v54, 0x3b00, -v127
	;; [unrolled: 1-line block ×4, first 2 shown]
	v_fmac_f16_e32 v108, 0x370e, v58
	v_fmac_f16_e32 v109, 0x370e, v65
	v_add_f16_e32 v53, v69, v50
	v_add_f16_e32 v57, v73, v52
	v_fmac_f16_e32 v51, 0x370e, v58
	v_fmac_f16_e32 v54, 0x370e, v65
	;; [unrolled: 1-line block ×4, first 2 shown]
	v_add_f16_e32 v58, v74, v50
	v_add_f16_e32 v50, v106, v50
	;; [unrolled: 1-line block ×5, first 2 shown]
	v_sub_f16_e32 v65, v57, v108
	v_pack_b32_f16 v47, v67, v47
	v_add_f16_e32 v66, v56, v50
	v_sub_f16_e32 v67, v59, v49
	v_sub_f16_e32 v68, v58, v54
	v_add_f16_e32 v69, v51, v52
	v_add_f16_e32 v54, v54, v58
	v_sub_f16_e32 v51, v52, v51
	v_sub_f16_e32 v50, v50, v56
	v_add_f16_e32 v49, v49, v59
	v_sub_f16_e32 v52, v53, v109
	v_add_f16_e32 v53, v108, v57
	v_pack_b32_f16 v56, v60, v65
	v_pack_b32_f16 v57, v66, v67
	;; [unrolled: 1-line block ×6, first 2 shown]
	ds_write2_b32 v63, v48, v55 offset0:148 offset1:203
	ds_write2_b32 v120, v47, v56 offset0:2 offset1:57
	;; [unrolled: 1-line block ×4, first 2 shown]
	ds_write_b32 v98, v50 offset:4400
	v_lshlrev_b64 v[47:48], 3, v[43:44]
	v_lshlrev_b32_e32 v49, 3, v61
	s_waitcnt lgkmcnt(0)
	s_barrier
	buffer_gl0_inv
	s_clause 0x2
	global_load_dwordx2 v[53:54], v64, s[2:3] offset:1496
	global_load_dwordx2 v[51:52], v49, s[2:3] offset:1496
	global_load_dwordx2 v[43:44], v[45:46], off offset:1496
	v_add_co_u32 v45, s1, s2, v47
	v_add_co_ci_u32_e64 v46, s1, s3, v48, s1
	v_add_co_u32 v41, s1, s2, v41
	v_add_co_ci_u32_e64 v42, s1, s3, v42, s1
	v_add_nc_u32_e32 v47, 0x898, v64
	global_load_dwordx2 v[45:46], v[45:46], off offset:1496
	v_add_co_u32 v69, s1, 0x120c, v32
	global_load_dwordx2 v[49:50], v[41:42], off offset:1496
	v_add_nc_u32_e32 v41, 0xa50, v64
	s_clause 0x1
	global_load_dwordx2 v[47:48], v47, s[2:3] offset:1496
	global_load_dwordx2 v[41:42], v41, s[2:3] offset:1496
	ds_read2_b32 v[73:74], v79 offset1:55
	ds_read2_b32 v[57:58], v72 offset0:74 offset1:129
	ds_read2_b32 v[64:65], v77 offset0:2 offset1:57
	ds_read2_b32 v[66:67], v72 offset0:184 offset1:239
	ds_read2_b32 v[55:56], v79 offset0:110 offset1:165
	ds_read2_b32 v[75:76], v77 offset0:112 offset1:167
	ds_read2_b32 v[107:108], v63 offset0:38 offset1:93
	ds_read2_b32 v[59:60], v71 offset0:92 offset1:147
	ds_read2_b32 v[112:113], v62 offset0:94 offset1:149
	ds_read2_b32 v[114:115], v63 offset0:148 offset1:203
	ds_read_b32 v62, v79 offset:4400
	v_add_co_ci_u32_e64 v70, s1, 0, v33, s1
	v_add_nc_u32_e32 v61, 0x600, v79
	v_add_nc_u32_e32 v78, 0x1000, v79
	s_waitcnt lgkmcnt(10)
	v_lshrrev_b32_e32 v118, 16, v73
	s_waitcnt lgkmcnt(9)
	v_lshrrev_b32_e32 v68, 16, v58
	;; [unrolled: 2-line block ×4, first 2 shown]
	v_lshrrev_b32_e32 v120, 16, v65
	v_lshrrev_b32_e32 v122, 16, v67
	s_waitcnt lgkmcnt(5)
	v_lshrrev_b32_e32 v123, 16, v75
	s_waitcnt lgkmcnt(4)
	v_lshrrev_b32_e32 v124, 16, v107
	v_lshrrev_b32_e32 v125, 16, v76
	;; [unrolled: 1-line block ×3, first 2 shown]
	s_waitcnt lgkmcnt(2)
	v_lshrrev_b32_e32 v127, 16, v112
	s_waitcnt lgkmcnt(1)
	v_lshrrev_b32_e32 v128, 16, v114
	v_lshrrev_b32_e32 v129, 16, v113
	;; [unrolled: 1-line block ×3, first 2 shown]
	s_waitcnt lgkmcnt(0)
	v_lshrrev_b32_e32 v131, 16, v62
	v_lshrrev_b32_e32 v119, 16, v74
	;; [unrolled: 1-line block ×7, first 2 shown]
	s_waitcnt vmcnt(6)
	v_mul_f16_sdwa v132, v68, v53 dst_sel:DWORD dst_unused:UNUSED_PAD src0_sel:DWORD src1_sel:WORD_1
	v_mul_f16_sdwa v133, v58, v53 dst_sel:DWORD dst_unused:UNUSED_PAD src0_sel:DWORD src1_sel:WORD_1
	v_mul_f16_sdwa v134, v116, v54 dst_sel:DWORD dst_unused:UNUSED_PAD src0_sel:DWORD src1_sel:WORD_1
	v_mul_f16_sdwa v135, v64, v54 dst_sel:DWORD dst_unused:UNUSED_PAD src0_sel:DWORD src1_sel:WORD_1
	s_waitcnt vmcnt(5)
	v_mul_f16_sdwa v136, v117, v51 dst_sel:DWORD dst_unused:UNUSED_PAD src0_sel:DWORD src1_sel:WORD_1
	v_mul_f16_sdwa v137, v66, v51 dst_sel:DWORD dst_unused:UNUSED_PAD src0_sel:DWORD src1_sel:WORD_1
	v_mul_f16_sdwa v138, v120, v52 dst_sel:DWORD dst_unused:UNUSED_PAD src0_sel:DWORD src1_sel:WORD_1
	v_mul_f16_sdwa v139, v65, v52 dst_sel:DWORD dst_unused:UNUSED_PAD src0_sel:DWORD src1_sel:WORD_1
	;; [unrolled: 5-line block ×7, first 2 shown]
	v_fma_f16 v58, v58, v53, -v132
	v_fmac_f16_e32 v133, v68, v53
	v_fma_f16 v64, v64, v54, -v134
	v_fmac_f16_e32 v135, v116, v54
	;; [unrolled: 2-line block ×8, first 2 shown]
	v_fmac_f16_e32 v149, v126, v49
	v_fmac_f16_e32 v151, v127, v50
	v_fma_f16 v107, v108, v49, -v148
	v_fma_f16 v108, v112, v50, -v150
	;; [unrolled: 1-line block ×3, first 2 shown]
	v_fmac_f16_e32 v153, v128, v47
	v_fma_f16 v113, v113, v48, -v154
	v_fmac_f16_e32 v155, v129, v48
	v_fma_f16 v114, v115, v41, -v156
	;; [unrolled: 2-line block ×3, first 2 shown]
	v_fmac_f16_e32 v159, v131, v42
	v_add_f16_e32 v116, v58, v64
	v_add_f16_e32 v122, v133, v135
	;; [unrolled: 1-line block ×5, first 2 shown]
	v_sub_f16_e32 v117, v133, v135
	v_add_f16_e32 v120, v118, v133
	v_add_f16_e32 v123, v74, v66
	v_sub_f16_e32 v125, v137, v139
	v_add_f16_e32 v126, v119, v137
	v_add_f16_e32 v128, v55, v67
	;; [unrolled: 1-line block ×7, first 2 shown]
	v_sub_f16_e32 v136, v145, v147
	v_add_f16_e32 v137, v106, v145
	v_add_f16_e32 v138, v145, v147
	;; [unrolled: 1-line block ×3, first 2 shown]
	v_sub_f16_e32 v130, v141, v143
	v_add_f16_e32 v141, v107, v108
	v_sub_f16_e32 v58, v58, v64
	v_sub_f16_e32 v66, v66, v65
	v_add_f16_e32 v140, v59, v107
	v_add_f16_e32 v148, v112, v113
	;; [unrolled: 1-line block ×4, first 2 shown]
	v_sub_f16_e32 v156, v157, v159
	v_add_f16_e32 v158, v109, v157
	v_add_f16_e32 v157, v157, v159
	v_fma_f16 v73, -0.5, v116, v73
	v_fmac_f16_e32 v118, -0.5, v122
	v_fmac_f16_e32 v74, -0.5, v124
	;; [unrolled: 1-line block ×3, first 2 shown]
	v_sub_f16_e32 v67, v67, v68
	v_sub_f16_e32 v75, v75, v76
	v_add_f16_e32 v144, v111, v149
	v_sub_f16_e32 v107, v107, v108
	v_add_f16_e32 v161, v62, v64
	v_add_f16_e32 v120, v120, v135
	;; [unrolled: 1-line block ×5, first 2 shown]
	v_fma_f16 v126, -0.5, v129, v55
	v_add_f16_e32 v127, v131, v143
	v_fmac_f16_e32 v121, -0.5, v132
	v_add_f16_e32 v76, v133, v76
	v_fmac_f16_e32 v56, -0.5, v134
	;; [unrolled: 2-line block ×3, first 2 shown]
	v_fmac_f16_e32 v111, -0.5, v145
	v_sub_f16_e32 v142, v149, v151
	v_fma_f16 v68, -0.5, v141, v59
	v_add_f16_e32 v146, v60, v112
	v_sub_f16_e32 v149, v153, v155
	v_add_f16_e32 v150, v110, v153
	v_sub_f16_e32 v153, v112, v113
	v_add_f16_e32 v112, v57, v114
	v_sub_f16_e32 v160, v114, v115
	v_add_f16_e32 v62, v140, v108
	v_fmac_f16_e32 v60, -0.5, v148
	v_fmac_f16_e32 v110, -0.5, v152
	;; [unrolled: 1-line block ×4, first 2 shown]
	v_fmamk_f16 v59, v117, 0x3aee, v73
	v_fmamk_f16 v108, v58, 0xbaee, v118
	v_fmac_f16_e32 v118, 0x3aee, v58
	v_fmamk_f16 v58, v125, 0x3aee, v74
	v_fmac_f16_e32 v74, 0xbaee, v125
	;; [unrolled: 2-line block ×3, first 2 shown]
	v_fmac_f16_e32 v119, 0x3aee, v66
	v_fmamk_f16 v129, v130, 0x3aee, v126
	v_fmac_f16_e32 v126, 0xbaee, v130
	v_fmamk_f16 v130, v67, 0xbaee, v121
	v_fmamk_f16 v131, v136, 0x3aee, v56
	v_fmamk_f16 v132, v75, 0xbaee, v106
	v_fmac_f16_e32 v106, 0x3aee, v75
	v_fmamk_f16 v117, v107, 0xbaee, v111
	v_fmac_f16_e32 v111, 0x3aee, v107
	v_pack_b32_f16 v75, v161, v120
	v_pack_b32_f16 v107, v122, v123
	;; [unrolled: 1-line block ×4, first 2 shown]
	v_fmac_f16_e32 v121, 0x3aee, v67
	v_fmac_f16_e32 v56, 0xbaee, v136
	v_fmamk_f16 v67, v142, 0x3aee, v68
	v_fmac_f16_e32 v68, 0xbaee, v142
	v_add_f16_e32 v114, v144, v151
	v_add_f16_e32 v65, v146, v113
	;; [unrolled: 1-line block ×5, first 2 shown]
	v_fmamk_f16 v66, v149, 0x3aee, v60
	v_fmac_f16_e32 v60, 0xbaee, v149
	v_fmamk_f16 v116, v153, 0xbaee, v110
	v_fmac_f16_e32 v110, 0x3aee, v153
	v_fmamk_f16 v55, v156, 0x3aee, v57
	v_fmac_f16_e32 v57, 0xbaee, v156
	v_fmamk_f16 v115, v160, 0xbaee, v109
	v_fmac_f16_e32 v109, 0x3aee, v160
	v_pack_b32_f16 v59, v59, v108
	v_pack_b32_f16 v58, v58, v125
	;; [unrolled: 1-line block ×4, first 2 shown]
	ds_write2_b32 v79, v75, v107 offset1:55
	v_pack_b32_f16 v75, v129, v130
	ds_write2_b32 v79, v120, v76 offset0:110 offset1:165
	v_pack_b32_f16 v76, v131, v132
	v_pack_b32_f16 v107, v126, v121
	;; [unrolled: 1-line block ×12, first 2 shown]
	ds_write2_b32 v72, v59, v58 offset0:129 offset1:184
	ds_write2_b32 v77, v73, v74 offset0:2 offset1:57
	;; [unrolled: 1-line block ×4, first 2 shown]
	ds_write_b32 v79, v119 offset:3960
	ds_write2_b32 v71, v122, v123 offset0:92 offset1:147
	ds_write2_b32 v63, v118, v120 offset0:93 offset1:148
	ds_write_b32 v79, v124 offset:1320
	ds_write_b32 v79, v125 offset:2860
	ds_write2_b32 v78, v121, v126 offset0:21 offset1:76
	s_waitcnt lgkmcnt(0)
	s_barrier
	buffer_gl0_inv
	s_clause 0x1
	global_load_dword v75, v[28:29], off offset:524
	global_load_dword v76, v[69:70], off offset:420
	v_add_co_u32 v58, s1, 0x1800, v32
	v_add_co_ci_u32_e64 v59, s1, 0, v33, s1
	v_add_co_u32 v73, s1, 0x2000, v32
	s_clause 0x4
	global_load_dword v78, v[69:70], off offset:840
	global_load_dword v118, v[69:70], off offset:1260
	global_load_dword v119, v[69:70], off offset:1680
	global_load_dword v120, v[58:59], off offset:576
	global_load_dword v121, v[58:59], off offset:996
	v_add_co_ci_u32_e64 v74, s1, 0, v33, s1
	s_clause 0x3
	global_load_dword v122, v[58:59], off offset:1416
	global_load_dword v123, v[58:59], off offset:1836
	global_load_dword v124, v[73:74], off offset:208
	global_load_dword v125, v[73:74], off offset:628
	ds_read2_b32 v[58:59], v79 offset1:105
	s_waitcnt lgkmcnt(0)
	v_lshrrev_b32_e32 v73, 16, v58
	v_lshrrev_b32_e32 v74, 16, v59
	s_waitcnt vmcnt(10)
	v_mul_f16_sdwa v107, v73, v75 dst_sel:DWORD dst_unused:UNUSED_PAD src0_sel:DWORD src1_sel:WORD_1
	v_mul_f16_sdwa v108, v58, v75 dst_sel:DWORD dst_unused:UNUSED_PAD src0_sel:DWORD src1_sel:WORD_1
	s_waitcnt vmcnt(9)
	v_mul_f16_sdwa v126, v74, v76 dst_sel:DWORD dst_unused:UNUSED_PAD src0_sel:DWORD src1_sel:WORD_1
	v_mul_f16_sdwa v127, v59, v76 dst_sel:DWORD dst_unused:UNUSED_PAD src0_sel:DWORD src1_sel:WORD_1
	v_fma_f16 v58, v58, v75, -v107
	v_fmac_f16_e32 v108, v73, v75
	v_fma_f16 v59, v59, v76, -v126
	v_fmac_f16_e32 v127, v74, v76
	v_pack_b32_f16 v58, v58, v108
	v_pack_b32_f16 v59, v59, v127
	ds_write2_b32 v79, v58, v59 offset1:105
	ds_read2_b32 v[58:59], v71 offset0:82 offset1:187
	ds_read2_b32 v[73:74], v61 offset0:36 offset1:141
	;; [unrolled: 1-line block ×4, first 2 shown]
	ds_read_b32 v126, v79 offset:4200
	s_waitcnt lgkmcnt(4)
	v_lshrrev_b32_e32 v127, 16, v58
	s_waitcnt vmcnt(8)
	v_mul_f16_sdwa v128, v58, v78 dst_sel:DWORD dst_unused:UNUSED_PAD src0_sel:DWORD src1_sel:WORD_1
	v_lshrrev_b32_e32 v129, 16, v59
	s_waitcnt vmcnt(7)
	v_mul_f16_sdwa v130, v59, v118 dst_sel:DWORD dst_unused:UNUSED_PAD src0_sel:DWORD src1_sel:WORD_1
	s_waitcnt lgkmcnt(3)
	v_lshrrev_b32_e32 v131, 16, v73
	s_waitcnt vmcnt(6)
	v_mul_f16_sdwa v132, v73, v119 dst_sel:DWORD dst_unused:UNUSED_PAD src0_sel:DWORD src1_sel:WORD_1
	v_lshrrev_b32_e32 v133, 16, v74
	s_waitcnt vmcnt(5)
	v_mul_f16_sdwa v134, v74, v120 dst_sel:DWORD dst_unused:UNUSED_PAD src0_sel:DWORD src1_sel:WORD_1
	s_waitcnt lgkmcnt(2)
	v_lshrrev_b32_e32 v135, 16, v75
	s_waitcnt vmcnt(4)
	v_mul_f16_sdwa v136, v75, v121 dst_sel:DWORD dst_unused:UNUSED_PAD src0_sel:DWORD src1_sel:WORD_1
	v_lshrrev_b32_e32 v137, 16, v76
	s_waitcnt vmcnt(3)
	v_mul_f16_sdwa v138, v76, v122 dst_sel:DWORD dst_unused:UNUSED_PAD src0_sel:DWORD src1_sel:WORD_1
	s_waitcnt lgkmcnt(1)
	v_lshrrev_b32_e32 v139, 16, v107
	s_waitcnt vmcnt(2)
	v_mul_f16_sdwa v140, v107, v123 dst_sel:DWORD dst_unused:UNUSED_PAD src0_sel:DWORD src1_sel:WORD_1
	v_lshrrev_b32_e32 v141, 16, v108
	s_waitcnt vmcnt(1)
	v_mul_f16_sdwa v142, v108, v124 dst_sel:DWORD dst_unused:UNUSED_PAD src0_sel:DWORD src1_sel:WORD_1
	s_waitcnt lgkmcnt(0)
	v_lshrrev_b32_e32 v143, 16, v126
	v_mul_f16_sdwa v145, v127, v78 dst_sel:DWORD dst_unused:UNUSED_PAD src0_sel:DWORD src1_sel:WORD_1
	v_fmac_f16_e32 v128, v127, v78
	v_mul_f16_sdwa v127, v129, v118 dst_sel:DWORD dst_unused:UNUSED_PAD src0_sel:DWORD src1_sel:WORD_1
	v_fmac_f16_e32 v130, v129, v118
	;; [unrolled: 2-line block ×7, first 2 shown]
	v_mul_f16_sdwa v139, v141, v124 dst_sel:DWORD dst_unused:UNUSED_PAD src0_sel:DWORD src1_sel:WORD_1
	s_waitcnt vmcnt(0)
	v_mul_f16_sdwa v144, v126, v125 dst_sel:DWORD dst_unused:UNUSED_PAD src0_sel:DWORD src1_sel:WORD_1
	v_fmac_f16_e32 v142, v141, v124
	v_mul_f16_sdwa v141, v143, v125 dst_sel:DWORD dst_unused:UNUSED_PAD src0_sel:DWORD src1_sel:WORD_1
	v_fma_f16 v58, v58, v78, -v145
	v_fma_f16 v59, v59, v118, -v127
	;; [unrolled: 1-line block ×8, first 2 shown]
	v_fmac_f16_e32 v144, v143, v125
	v_fma_f16 v108, v126, v125, -v141
	v_pack_b32_f16 v58, v58, v128
	v_pack_b32_f16 v59, v59, v130
	;; [unrolled: 1-line block ×9, first 2 shown]
	ds_write2_b32 v71, v58, v59 offset0:82 offset1:187
	ds_write2_b32 v61, v73, v74 offset0:36 offset1:141
	;; [unrolled: 1-line block ×4, first 2 shown]
	ds_write_b32 v79, v108 offset:4200
	s_and_saveexec_b32 s2, vcc_lo
	s_cbranch_execz .LBB0_13
; %bb.12:
	s_clause 0x1
	global_load_dword v73, v[69:70], off offset:220
	global_load_dword v74, v[69:70], off offset:640
	v_add_co_u32 v58, s1, 0x800, v69
	v_add_co_ci_u32_e64 v59, s1, 0, v70, s1
	s_clause 0x5
	global_load_dword v78, v[69:70], off offset:1060
	global_load_dword v107, v[69:70], off offset:1480
	;; [unrolled: 1-line block ×6, first 2 shown]
	v_add_co_u32 v69, s1, 0x1000, v69
	v_add_co_ci_u32_e64 v70, s1, 0, v70, s1
	s_clause 0x2
	global_load_dword v121, v[58:59], off offset:1532
	global_load_dword v122, v[58:59], off offset:1952
	;; [unrolled: 1-line block ×3, first 2 shown]
	ds_read2_b32 v[58:59], v79 offset0:55 offset1:160
	s_waitcnt lgkmcnt(0)
	v_lshrrev_b32_e32 v69, 16, v58
	v_lshrrev_b32_e32 v70, 16, v59
	s_waitcnt vmcnt(10)
	v_mul_f16_sdwa v75, v69, v73 dst_sel:DWORD dst_unused:UNUSED_PAD src0_sel:DWORD src1_sel:WORD_1
	v_mul_f16_sdwa v76, v58, v73 dst_sel:DWORD dst_unused:UNUSED_PAD src0_sel:DWORD src1_sel:WORD_1
	s_waitcnt vmcnt(9)
	v_mul_f16_sdwa v124, v70, v74 dst_sel:DWORD dst_unused:UNUSED_PAD src0_sel:DWORD src1_sel:WORD_1
	v_mul_f16_sdwa v125, v59, v74 dst_sel:DWORD dst_unused:UNUSED_PAD src0_sel:DWORD src1_sel:WORD_1
	v_fma_f16 v58, v58, v73, -v75
	v_fmac_f16_e32 v76, v69, v73
	v_fma_f16 v59, v59, v74, -v124
	v_fmac_f16_e32 v125, v70, v74
	v_add_nc_u32_e32 v124, 0xa00, v79
	v_pack_b32_f16 v58, v58, v76
	v_pack_b32_f16 v59, v59, v125
	ds_write2_b32 v79, v58, v59 offset0:55 offset1:160
	ds_read2_b32 v[58:59], v72 offset0:9 offset1:114
	ds_read2_b32 v[69:70], v61 offset0:91 offset1:196
	;; [unrolled: 1-line block ×4, first 2 shown]
	ds_read_b32 v125, v79 offset:4420
	s_waitcnt lgkmcnt(3)
	v_lshrrev_b32_e32 v130, 16, v69
	s_waitcnt vmcnt(6)
	v_mul_f16_sdwa v131, v69, v108 dst_sel:DWORD dst_unused:UNUSED_PAD src0_sel:DWORD src1_sel:WORD_1
	v_lshrrev_b32_e32 v126, 16, v58
	v_mul_f16_sdwa v127, v58, v78 dst_sel:DWORD dst_unused:UNUSED_PAD src0_sel:DWORD src1_sel:WORD_1
	v_lshrrev_b32_e32 v128, 16, v59
	;; [unrolled: 2-line block ×3, first 2 shown]
	s_waitcnt vmcnt(5)
	v_mul_f16_sdwa v133, v70, v118 dst_sel:DWORD dst_unused:UNUSED_PAD src0_sel:DWORD src1_sel:WORD_1
	s_waitcnt lgkmcnt(2)
	v_lshrrev_b32_e32 v134, 16, v73
	s_waitcnt vmcnt(4)
	v_mul_f16_sdwa v135, v73, v119 dst_sel:DWORD dst_unused:UNUSED_PAD src0_sel:DWORD src1_sel:WORD_1
	v_lshrrev_b32_e32 v136, 16, v74
	s_waitcnt vmcnt(3)
	v_mul_f16_sdwa v137, v74, v120 dst_sel:DWORD dst_unused:UNUSED_PAD src0_sel:DWORD src1_sel:WORD_1
	s_waitcnt lgkmcnt(1)
	v_lshrrev_b32_e32 v138, 16, v75
	s_waitcnt vmcnt(2)
	v_mul_f16_sdwa v139, v75, v121 dst_sel:DWORD dst_unused:UNUSED_PAD src0_sel:DWORD src1_sel:WORD_1
	v_lshrrev_b32_e32 v140, 16, v76
	s_waitcnt vmcnt(1)
	v_mul_f16_sdwa v141, v76, v122 dst_sel:DWORD dst_unused:UNUSED_PAD src0_sel:DWORD src1_sel:WORD_1
	s_waitcnt lgkmcnt(0)
	v_lshrrev_b32_e32 v142, 16, v125
	v_mul_f16_sdwa v144, v126, v78 dst_sel:DWORD dst_unused:UNUSED_PAD src0_sel:DWORD src1_sel:WORD_1
	v_fmac_f16_e32 v127, v126, v78
	v_mul_f16_sdwa v126, v128, v107 dst_sel:DWORD dst_unused:UNUSED_PAD src0_sel:DWORD src1_sel:WORD_1
	v_fmac_f16_e32 v129, v128, v107
	;; [unrolled: 2-line block ×7, first 2 shown]
	v_mul_f16_sdwa v138, v140, v122 dst_sel:DWORD dst_unused:UNUSED_PAD src0_sel:DWORD src1_sel:WORD_1
	s_waitcnt vmcnt(0)
	v_mul_f16_sdwa v143, v125, v123 dst_sel:DWORD dst_unused:UNUSED_PAD src0_sel:DWORD src1_sel:WORD_1
	v_fmac_f16_e32 v141, v140, v122
	v_mul_f16_sdwa v140, v142, v123 dst_sel:DWORD dst_unused:UNUSED_PAD src0_sel:DWORD src1_sel:WORD_1
	v_fma_f16 v58, v58, v78, -v144
	v_fma_f16 v59, v59, v107, -v126
	;; [unrolled: 1-line block ×8, first 2 shown]
	v_fmac_f16_e32 v143, v142, v123
	v_fma_f16 v78, v125, v123, -v140
	v_pack_b32_f16 v58, v58, v127
	v_pack_b32_f16 v59, v59, v129
	;; [unrolled: 1-line block ×9, first 2 shown]
	ds_write2_b32 v72, v58, v59 offset0:9 offset1:114
	ds_write2_b32 v61, v69, v70 offset0:91 offset1:196
	;; [unrolled: 1-line block ×4, first 2 shown]
	ds_write_b32 v79, v78 offset:4420
.LBB0_13:
	s_or_b32 exec_lo, exec_lo, s2
	s_waitcnt lgkmcnt(0)
	s_barrier
	buffer_gl0_inv
	ds_read2_b32 v[69:70], v79 offset1:105
	ds_read2_b32 v[75:76], v71 offset0:82 offset1:187
	ds_read2_b32 v[71:72], v61 offset0:36 offset1:141
	;; [unrolled: 1-line block ×4, first 2 shown]
	ds_read_b32 v156, v79 offset:4200
	s_and_saveexec_b32 s1, vcc_lo
	s_cbranch_execz .LBB0_15
; %bb.14:
	v_add_nc_u32_e32 v55, 0x400, v79
	v_add_nc_u32_e32 v56, 0x600, v79
	;; [unrolled: 1-line block ×3, first 2 shown]
	ds_read2_b32 v[61:62], v79 offset0:55 offset1:160
	ds_read_b32 v104, v79 offset:4420
	ds_read2_b32 v[67:68], v55 offset0:9 offset1:114
	v_add_nc_u32_e32 v55, 0xc00, v79
	ds_read2_b32 v[65:66], v56 offset0:91 offset1:196
	ds_read2_b32 v[63:64], v57 offset0:45 offset1:150
	;; [unrolled: 1-line block ×3, first 2 shown]
	s_waitcnt lgkmcnt(5)
	v_lshrrev_b32_e32 v106, 16, v61
	v_lshrrev_b32_e32 v114, 16, v62
	s_waitcnt lgkmcnt(4)
	v_lshrrev_b32_e32 v105, 16, v104
	s_waitcnt lgkmcnt(3)
	v_lshrrev_b32_e32 v117, 16, v67
	v_lshrrev_b32_e32 v111, 16, v68
	s_waitcnt lgkmcnt(2)
	v_lshrrev_b32_e32 v113, 16, v65
	;; [unrolled: 3-line block ×4, first 2 shown]
	v_lshrrev_b32_e32 v109, 16, v56
	v_mov_b32_e32 v60, v63
	v_mov_b32_e32 v57, v56
	;; [unrolled: 1-line block ×3, first 2 shown]
.LBB0_15:
	s_or_b32 exec_lo, exec_lo, s1
	v_sub_f16_e32 v138, v114, v105
	v_add_f16_e32 v144, v105, v114
	v_add_f16_e32 v61, v104, v62
	v_sub_f16_e32 v141, v117, v109
	v_sub_f16_e32 v118, v62, v104
	v_mul_f16_e32 v124, 0xb853, v138
	v_mul_f16_e32 v129, 0x3abb, v144
	v_add_f16_e32 v63, v57, v67
	v_mul_f16_e32 v133, 0xbb47, v138
	v_mul_f16_e32 v125, 0xbb47, v141
	v_fma_f16 v59, v61, 0x3abb, -v124
	v_add_f16_e32 v148, v109, v117
	v_fmamk_f16 v107, v118, 0xb853, v129
	v_mul_f16_e32 v139, 0x36a6, v144
	v_fma_f16 v108, v61, 0x36a6, -v133
	v_add_f16_e32 v59, v56, v59
	v_fma_f16 v121, v63, 0x36a6, -v125
	v_sub_f16_e32 v119, v67, v57
	v_mul_f16_e32 v132, 0x36a6, v148
	v_mul_f16_e32 v135, 0xba0c, v141
	v_add_f16_e32 v150, v115, v111
	v_add_f16_e32 v107, v106, v107
	v_fmamk_f16 v120, v118, 0xbb47, v139
	v_add_f16_e32 v108, v56, v108
	v_add_f16_e32 v59, v121, v59
	v_fmamk_f16 v123, v119, 0xbb47, v132
	v_sub_f16_e32 v145, v111, v115
	v_mul_f16_e32 v143, 0xb93d, v148
	v_fma_f16 v126, v63, 0xb93d, -v135
	v_sub_f16_e32 v121, v68, v55
	v_mul_f16_e32 v131, 0xb08e, v150
	s_waitcnt lgkmcnt(5)
	v_pk_add_f16 v58, v69, v70
	v_add_f16_e32 v122, v106, v120
	v_add_f16_e32 v120, v55, v68
	v_mul_f16_e32 v127, 0xbbeb, v145
	v_fmamk_f16 v128, v119, 0xba0c, v143
	v_add_f16_e32 v107, v123, v107
	v_add_f16_e32 v108, v126, v108
	v_fmamk_f16 v126, v121, 0xbbeb, v131
	v_mul_f16_e32 v140, 0x3482, v145
	v_sub_f16_e32 v149, v113, v112
	v_fma_f16 v123, v120, 0xb08e, -v127
	v_add_f16_e32 v128, v128, v122
	v_mul_f16_e32 v146, 0xbbad, v150
	v_add_f16_e32 v107, v126, v107
	v_fma_f16 v126, v120, 0xbbad, -v140
	v_add_f16_e32 v151, v112, v113
	v_add_f16_e32 v122, v64, v65
	v_mul_f16_e32 v137, 0x3beb, v149
	s_waitcnt lgkmcnt(4)
	v_pk_add_f16 v58, v58, v75
	v_add_f16_e32 v59, v123, v59
	v_fmamk_f16 v136, v121, 0x3482, v146
	v_mul_f16_e32 v130, 0xba0c, v149
	v_sub_f16_e32 v123, v65, v64
	v_mul_f16_e32 v134, 0xb93d, v151
	v_add_f16_e32 v108, v126, v108
	v_fma_f16 v142, v122, 0xb08e, -v137
	v_mul_f16_e32 v152, 0xb08e, v151
	v_pk_add_f16 v58, v58, v76
	v_fma_f16 v126, v122, 0xb93d, -v130
	v_add_f16_e32 v128, v136, v128
	v_fmamk_f16 v136, v123, 0xba0c, v134
	v_add_f16_e32 v157, v142, v108
	v_sub_f16_e32 v153, v116, v110
	v_fmamk_f16 v108, v123, 0x3beb, v152
	s_waitcnt lgkmcnt(3)
	v_pk_add_f16 v58, v58, v71
	v_add_f16_e32 v155, v110, v116
	v_add_f16_e32 v59, v126, v59
	;; [unrolled: 1-line block ×4, first 2 shown]
	v_mul_f16_e32 v136, 0xb482, v153
	v_add_f16_e32 v158, v108, v128
	v_sub_f16_e32 v128, v66, v60
	v_pk_add_f16 v58, v58, v72
	v_mul_f16_e32 v142, 0xbbad, v155
	v_fma_f16 v108, v126, 0xbbad, -v136
	v_mul_f16_e32 v147, 0x3853, v153
	v_mul_f16_e32 v154, 0x3abb, v155
	s_waitcnt lgkmcnt(2)
	v_pk_add_f16 v58, v58, v73
	v_fmamk_f16 v159, v128, 0xb482, v142
	v_add_f16_e32 v59, v108, v59
	v_fma_f16 v160, v126, 0x3abb, -v147
	v_fmamk_f16 v161, v128, 0x3853, v154
	v_pk_add_f16 v162, v58, v74
	v_add_f16_e32 v108, v159, v107
	s_waitcnt lgkmcnt(0)
	v_pk_add_f16 v159, v70, v156 neg_lo:[0,1] neg_hi:[0,1]
	v_add_f16_e32 v58, v160, v157
	v_add_f16_e32 v107, v161, v158
	v_pk_add_f16 v157, v162, v77
	v_pk_add_f16 v70, v156, v70
	v_pk_mul_f16 v158, 0xb853, v159 op_sel_hi:[0,1]
	v_pk_add_f16 v173, v75, v78 neg_lo:[0,1] neg_hi:[0,1]
	v_mov_b32_e32 v160, 0xbb47
	v_pk_add_f16 v157, v157, v78
	v_pk_add_f16 v75, v78, v75
	v_pk_fma_f16 v161, 0x3abb, v70, v158 op_sel:[0,0,1] op_sel_hi:[0,1,0]
	v_pk_fma_f16 v158, 0x3abb, v70, v158 op_sel:[0,0,1] op_sel_hi:[0,1,0] neg_lo:[0,0,1] neg_hi:[0,0,1]
	v_pk_mul_f16 v78, 0xbb47, v173 op_sel_hi:[0,1]
	v_mul_f16_sdwa v160, v159, v160 dst_sel:DWORD dst_unused:UNUSED_PAD src0_sel:WORD_1 src1_sel:DWORD
	v_mov_b32_e32 v171, 0xba0c
	v_pk_add_f16 v156, v157, v156
	v_bfi_b32 v162, 0xffff, v161, v158
	v_pk_fma_f16 v178, 0x36a6, v75, v78 op_sel:[0,0,1] op_sel_hi:[0,1,0]
	v_pk_fma_f16 v78, 0x36a6, v75, v78 op_sel:[0,0,1] op_sel_hi:[0,1,0] neg_lo:[0,0,1] neg_hi:[0,0,1]
	v_mov_b32_e32 v157, 0x36a6
	v_fmamk_f16 v163, v70, 0x36a6, v160
	v_mov_b32_e32 v164, 0xbbeb
	v_pk_add_f16 v162, v69, v162
	v_bfi_b32 v179, 0xffff, v178, v78
	v_mul_f16_sdwa v180, v173, v171 dst_sel:DWORD dst_unused:UNUSED_PAD src0_sel:WORD_1 src1_sel:DWORD
	v_mov_b32_e32 v165, 0xb08e
	v_mul_f16_sdwa v166, v70, v157 dst_sel:DWORD dst_unused:UNUSED_PAD src0_sel:WORD_1 src1_sel:DWORD
	v_add_f16_e32 v163, v69, v163
	v_mul_f16_sdwa v164, v159, v164 dst_sel:DWORD dst_unused:UNUSED_PAD src0_sel:WORD_1 src1_sel:DWORD
	v_fma_f16 v160, v70, 0x36a6, -v160
	v_mov_b32_e32 v172, 0xb93d
	v_pk_add_f16 v162, v179, v162
	v_fmamk_f16 v179, v75, 0xb93d, v180
	v_mov_b32_e32 v182, 0x3482
	v_mul_f16_sdwa v167, v70, v165 dst_sel:DWORD dst_unused:UNUSED_PAD src0_sel:WORD_1 src1_sel:DWORD
	v_fmamk_f16 v168, v159, 0x3b47, v166
	v_fmamk_f16 v169, v70, 0xb08e, v164
	v_add_f16_e32 v160, v69, v160
	v_fma_f16 v164, v70, 0xb08e, -v164
	v_mul_f16_sdwa v181, v75, v172 dst_sel:DWORD dst_unused:UNUSED_PAD src0_sel:WORD_1 src1_sel:DWORD
	v_mov_b32_e32 v183, 0xbbad
	v_fma_f16 v180, v75, 0xb93d, -v180
	v_add_f16_e32 v163, v179, v163
	v_mul_f16_sdwa v179, v173, v182 dst_sel:DWORD dst_unused:UNUSED_PAD src0_sel:WORD_1 src1_sel:DWORD
	v_fmac_f16_e32 v166, 0xbb47, v159
	v_fmamk_f16 v170, v159, 0x3beb, v167
	v_add_f16_sdwa v168, v69, v168 dst_sel:DWORD dst_unused:UNUSED_PAD src0_sel:WORD_1 src1_sel:DWORD
	v_add_f16_e32 v169, v69, v169
	v_mul_f16_sdwa v174, v159, v171 dst_sel:DWORD dst_unused:UNUSED_PAD src0_sel:WORD_1 src1_sel:DWORD
	v_add_f16_e32 v164, v69, v164
	v_fmamk_f16 v184, v173, 0x3a0c, v181
	v_mul_f16_sdwa v185, v75, v183 dst_sel:DWORD dst_unused:UNUSED_PAD src0_sel:WORD_1 src1_sel:DWORD
	v_add_f16_e32 v160, v180, v160
	v_fmamk_f16 v180, v75, 0xbbad, v179
	v_mov_b32_e32 v186, 0x3beb
	v_fma_f16 v179, v75, 0xbbad, -v179
	v_add_f16_sdwa v166, v69, v166 dst_sel:DWORD dst_unused:UNUSED_PAD src0_sel:WORD_1 src1_sel:DWORD
	v_add_f16_sdwa v170, v69, v170 dst_sel:DWORD dst_unused:UNUSED_PAD src0_sel:WORD_1 src1_sel:DWORD
	v_fmac_f16_e32 v167, 0xbbeb, v159
	v_mul_f16_sdwa v175, v70, v172 dst_sel:DWORD dst_unused:UNUSED_PAD src0_sel:WORD_1 src1_sel:DWORD
	v_fmamk_f16 v176, v70, 0xb93d, v174
	v_add_f16_e32 v168, v184, v168
	v_fmac_f16_e32 v181, 0xba0c, v173
	v_fmamk_f16 v184, v173, 0xb482, v185
	v_add_f16_e32 v169, v180, v169
	v_mul_f16_sdwa v180, v173, v186 dst_sel:DWORD dst_unused:UNUSED_PAD src0_sel:WORD_1 src1_sel:DWORD
	v_add_f16_e32 v164, v179, v164
	v_pk_add_f16 v179, v76, v77 neg_lo:[0,1] neg_hi:[0,1]
	v_add_f16_sdwa v167, v69, v167 dst_sel:DWORD dst_unused:UNUSED_PAD src0_sel:WORD_1 src1_sel:DWORD
	v_fmamk_f16 v177, v159, 0x3a0c, v175
	v_add_f16_e32 v176, v69, v176
	v_fma_f16 v174, v70, 0xb93d, -v174
	v_fmac_f16_e32 v175, 0xba0c, v159
	v_add_f16_e32 v166, v181, v166
	v_add_f16_e32 v170, v184, v170
	v_fmac_f16_e32 v185, 0x3482, v173
	v_mul_f16_sdwa v181, v75, v165 dst_sel:DWORD dst_unused:UNUSED_PAD src0_sel:WORD_1 src1_sel:DWORD
	v_fmamk_f16 v184, v75, 0xb08e, v180
	v_pk_add_f16 v76, v77, v76
	v_pk_mul_f16 v77, 0xbbeb, v179 op_sel_hi:[0,1]
	v_add_f16_sdwa v177, v69, v177 dst_sel:DWORD dst_unused:UNUSED_PAD src0_sel:WORD_1 src1_sel:DWORD
	v_add_f16_e32 v174, v69, v174
	v_add_f16_sdwa v175, v69, v175 dst_sel:DWORD dst_unused:UNUSED_PAD src0_sel:WORD_1 src1_sel:DWORD
	v_add_f16_e32 v167, v185, v167
	v_fmamk_f16 v185, v173, 0xbbeb, v181
	v_add_f16_e32 v176, v184, v176
	v_fma_f16 v180, v75, 0xb08e, -v180
	v_pk_fma_f16 v184, 0xb08e, v76, v77 op_sel:[0,0,1] op_sel_hi:[0,1,0]
	v_pk_fma_f16 v77, 0xb08e, v76, v77 op_sel:[0,0,1] op_sel_hi:[0,1,0] neg_lo:[0,0,1] neg_hi:[0,0,1]
	v_fmac_f16_e32 v181, 0x3beb, v173
	v_mul_f16_sdwa v182, v179, v182 dst_sel:DWORD dst_unused:UNUSED_PAD src0_sel:WORD_1 src1_sel:DWORD
	v_add_f16_e32 v177, v185, v177
	v_add_f16_e32 v174, v180, v174
	v_bfi_b32 v180, 0xffff, v184, v77
	v_mul_f16_sdwa v185, v76, v183 dst_sel:DWORD dst_unused:UNUSED_PAD src0_sel:WORD_1 src1_sel:DWORD
	v_add_f16_e32 v175, v181, v175
	v_fmamk_f16 v181, v76, 0xbbad, v182
	v_mov_b32_e32 v187, 0x3b47
	v_pk_add_f16 v162, v180, v162
	v_fmamk_f16 v180, v179, 0xb482, v185
	v_fma_f16 v182, v76, 0xbbad, -v182
	v_add_f16_e32 v163, v181, v163
	v_mul_f16_sdwa v181, v179, v187 dst_sel:DWORD dst_unused:UNUSED_PAD src0_sel:WORD_1 src1_sel:DWORD
	v_mul_f16_sdwa v188, v76, v157 dst_sel:DWORD dst_unused:UNUSED_PAD src0_sel:WORD_1 src1_sel:DWORD
	v_add_f16_e32 v168, v180, v168
	v_add_f16_e32 v160, v182, v160
	v_fmac_f16_e32 v185, 0x3482, v179
	v_fmamk_f16 v180, v76, 0x36a6, v181
	v_fmamk_f16 v182, v179, 0xbb47, v188
	v_mov_b32_e32 v189, 0xb853
	v_mov_b32_e32 v190, 0x3abb
	v_add_f16_e32 v166, v185, v166
	v_add_f16_e32 v169, v180, v169
	;; [unrolled: 1-line block ×3, first 2 shown]
	v_mul_f16_sdwa v180, v179, v189 dst_sel:DWORD dst_unused:UNUSED_PAD src0_sel:WORD_1 src1_sel:DWORD
	v_mul_f16_sdwa v182, v76, v190 dst_sel:DWORD dst_unused:UNUSED_PAD src0_sel:WORD_1 src1_sel:DWORD
	v_pk_add_f16 v185, v71, v74 neg_lo:[0,1] neg_hi:[0,1]
	v_pk_add_f16 v71, v74, v71
	v_fma_f16 v181, v76, 0x36a6, -v181
	v_fmamk_f16 v191, v76, 0x3abb, v180
	v_fmamk_f16 v192, v179, 0x3853, v182
	v_pk_mul_f16 v74, 0xba0c, v185 op_sel_hi:[0,1]
	v_fma_f16 v180, v76, 0x3abb, -v180
	v_mul_f16_sdwa v186, v185, v186 dst_sel:DWORD dst_unused:UNUSED_PAD src0_sel:WORD_1 src1_sel:DWORD
	v_fmac_f16_e32 v182, 0xb853, v179
	v_mul_f16_sdwa v165, v71, v165 dst_sel:DWORD dst_unused:UNUSED_PAD src0_sel:WORD_1 src1_sel:DWORD
	v_fmac_f16_e32 v188, 0x3b47, v179
	v_add_f16_e32 v164, v181, v164
	v_pk_fma_f16 v181, 0xb93d, v71, v74 op_sel:[0,0,1] op_sel_hi:[0,1,0]
	v_pk_fma_f16 v74, 0xb93d, v71, v74 op_sel:[0,0,1] op_sel_hi:[0,1,0] neg_lo:[0,0,1] neg_hi:[0,0,1]
	v_add_f16_e32 v174, v180, v174
	v_fmamk_f16 v180, v71, 0xb08e, v186
	v_add_f16_e32 v175, v182, v175
	v_fmamk_f16 v182, v185, 0xbbeb, v165
	v_add_f16_e32 v167, v188, v167
	v_bfi_b32 v188, 0xffff, v181, v74
	v_fma_f16 v186, v71, 0xb08e, -v186
	v_add_f16_e32 v163, v180, v163
	v_mul_f16_sdwa v180, v185, v189 dst_sel:DWORD dst_unused:UNUSED_PAD src0_sel:WORD_1 src1_sel:DWORD
	v_add_f16_e32 v168, v182, v168
	v_mul_f16_sdwa v182, v71, v190 dst_sel:DWORD dst_unused:UNUSED_PAD src0_sel:WORD_1 src1_sel:DWORD
	v_pk_add_f16 v162, v188, v162
	v_add_f16_e32 v160, v186, v160
	v_fmac_f16_e32 v165, 0x3beb, v185
	v_fmamk_f16 v186, v71, 0x3abb, v180
	v_mov_b32_e32 v188, 0xb482
	v_fmamk_f16 v189, v185, 0x3853, v182
	v_fma_f16 v180, v71, 0x3abb, -v180
	v_fmac_f16_e32 v182, 0xb853, v185
	v_add_f16_e32 v165, v165, v166
	v_add_f16_e32 v166, v186, v169
	v_mul_f16_sdwa v169, v185, v188 dst_sel:DWORD dst_unused:UNUSED_PAD src0_sel:WORD_1 src1_sel:DWORD
	v_add_f16_e32 v164, v180, v164
	v_pk_add_f16 v180, v72, v73 neg_lo:[0,1] neg_hi:[0,1]
	v_add_f16_e32 v167, v182, v167
	v_mov_b32_e32 v182, 0x3853
	v_add_f16_e32 v176, v191, v176
	v_fmamk_f16 v186, v71, 0xbbad, v169
	v_mul_f16_sdwa v183, v71, v183 dst_sel:DWORD dst_unused:UNUSED_PAD src0_sel:WORD_1 src1_sel:DWORD
	v_pk_add_f16 v72, v73, v72
	v_fma_f16 v169, v71, 0xbbad, -v169
	v_mul_f16_sdwa v182, v180, v182 dst_sel:DWORD dst_unused:UNUSED_PAD src0_sel:WORD_1 src1_sel:DWORD
	v_pk_mul_f16 v73, 0xb482, v180 op_sel_hi:[0,1]
	v_add_f16_e32 v176, v186, v176
	v_fmamk_f16 v186, v185, 0x3482, v183
	v_fmac_f16_e32 v183, 0xb482, v185
	v_add_f16_e32 v169, v169, v174
	v_fmamk_f16 v174, v72, 0x3abb, v182
	v_mul_f16_sdwa v171, v180, v171 dst_sel:DWORD dst_unused:UNUSED_PAD src0_sel:WORD_1 src1_sel:DWORD
	v_fma_f16 v182, v72, 0x3abb, -v182
	v_add_f16_e32 v177, v192, v177
	v_add_f16_e32 v170, v189, v170
	v_pk_fma_f16 v188, 0xbbad, v72, v73 op_sel:[0,0,1] op_sel_hi:[0,1,0]
	v_pk_fma_f16 v73, 0xbbad, v72, v73 op_sel:[0,0,1] op_sel_hi:[0,1,0] neg_lo:[0,0,1] neg_hi:[0,0,1]
	v_mul_f16_sdwa v189, v72, v190 dst_sel:DWORD dst_unused:UNUSED_PAD src0_sel:WORD_1 src1_sel:DWORD
	v_add_f16_e32 v175, v183, v175
	v_fmamk_f16 v183, v72, 0xb93d, v171
	v_add_f16_e32 v160, v182, v160
	v_fma_f16 v171, v72, 0xb93d, -v171
	v_mul_f16_sdwa v182, v180, v187 dst_sel:DWORD dst_unused:UNUSED_PAD src0_sel:WORD_1 src1_sel:DWORD
	v_add_f16_e32 v177, v186, v177
	v_bfi_b32 v186, 0xffff, v188, v73
	v_add_f16_e32 v163, v174, v163
	v_fmamk_f16 v174, v180, 0xb853, v189
	v_mul_f16_sdwa v172, v72, v172 dst_sel:DWORD dst_unused:UNUSED_PAD src0_sel:WORD_1 src1_sel:DWORD
	v_add_f16_e32 v164, v171, v164
	v_fmamk_f16 v171, v72, 0x36a6, v182
	v_pk_mul_f16 v70, 0xbbad, v70 op_sel_hi:[0,1]
	v_pk_add_f16 v162, v186, v162
	v_add_f16_e32 v168, v174, v168
	v_fmamk_f16 v174, v180, 0x3a0c, v172
	v_add_f16_e32 v171, v171, v176
	v_pk_fma_f16 v176, 0xb482, v159, v70 op_sel:[0,0,1] op_sel_hi:[0,1,0]
	v_pk_mul_f16 v75, 0x3abb, v75 op_sel_hi:[0,1]
	s_barrier
	buffer_gl0_inv
	v_add_f16_e32 v166, v183, v166
	v_add_f16_e32 v170, v174, v170
	ds_write2_b32 v94, v156, v162 offset1:1
	v_alignbit_b32 v156, s0, v176, 16
	v_pk_fma_f16 v70, 0xb482, v159, v70 op_sel:[0,0,1] op_sel_hi:[0,1,0] neg_lo:[0,1,0] neg_hi:[0,1,0]
	v_pk_fma_f16 v159, 0x3853, v173, v75 op_sel:[0,0,1] op_sel_hi:[0,1,0]
	v_pk_mul_f16 v76, 0xb93d, v76 op_sel_hi:[0,1]
	v_pack_b32_f16 v162, v166, v170
	v_pack_b32_f16 v163, v163, v168
	v_pk_add_f16 v156, v69, v156
	v_alignbit_b32 v166, s0, v69, 16
	v_pk_add_f16 v70, v69, v70 op_sel:[1,0] op_sel_hi:[0,1]
	v_alignbit_b32 v168, s0, v159, 16
	v_pk_fma_f16 v75, 0x3853, v173, v75 op_sel:[0,0,1] op_sel_hi:[0,1,0] neg_lo:[0,1,0] neg_hi:[0,1,0]
	v_pk_fma_f16 v170, 0xba0c, v179, v76 op_sel:[0,0,1] op_sel_hi:[0,1,0]
	v_pk_mul_f16 v71, 0x36a6, v71 op_sel_hi:[0,1]
	v_pk_add_f16 v166, v166, v176
	v_pk_add_f16 v156, v168, v156
	;; [unrolled: 1-line block ×3, first 2 shown]
	v_alignbit_b32 v75, s0, v170, 16
	v_pk_fma_f16 v76, 0xba0c, v179, v76 op_sel:[0,0,1] op_sel_hi:[0,1,0] neg_lo:[0,1,0] neg_hi:[0,1,0]
	v_pk_fma_f16 v168, 0x3b47, v185, v71 op_sel:[0,0,1] op_sel_hi:[0,1,0]
	v_bfi_b32 v158, 0xffff, v158, v161
	v_mul_f16_sdwa v157, v72, v157 dst_sel:DWORD dst_unused:UNUSED_PAD src0_sel:WORD_1 src1_sel:DWORD
	v_fma_f16 v174, v72, 0x36a6, -v182
	v_pk_add_f16 v159, v159, v166
	v_pk_add_f16 v75, v75, v156
	;; [unrolled: 1-line block ×3, first 2 shown]
	v_alignbit_b32 v76, s0, v168, 16
	v_pk_mul_f16 v72, 0xb08e, v72 op_sel_hi:[0,1]
	v_pk_add_f16 v69, v69, v158
	v_bfi_b32 v78, 0xffff, v78, v178
	v_fmac_f16_e32 v172, 0xba0c, v180
	v_pk_add_f16 v156, v170, v159
	v_pk_fma_f16 v71, 0x3b47, v185, v71 op_sel:[0,0,1] op_sel_hi:[0,1,0] neg_lo:[0,1,0] neg_hi:[0,1,0]
	v_pk_add_f16 v75, v76, v75
	v_pk_fma_f16 v76, 0xbbeb, v180, v72 op_sel:[0,0,1] op_sel_hi:[0,1,0]
	v_pk_add_f16 v69, v78, v69
	v_bfi_b32 v77, 0xffff, v77, v184
	v_add_f16_e32 v167, v172, v167
	v_fmamk_f16 v172, v180, 0xbb47, v157
	v_pk_add_f16 v70, v71, v70
	v_pk_fma_f16 v71, 0xbbeb, v180, v72 op_sel:[0,0,1] op_sel_hi:[0,1,0] neg_lo:[0,1,0] neg_hi:[0,1,0]
	v_pk_add_f16 v72, v168, v156
	v_alignbit_b32 v78, s0, v76, 16
	v_fmac_f16_e32 v157, 0x3b47, v180
	v_fmac_f16_e32 v189, 0x3853, v180
	v_pk_add_f16 v69, v77, v69
	v_bfi_b32 v74, 0xffff, v74, v181
	v_add_f16_e32 v172, v172, v177
	v_pk_add_f16 v70, v71, v70
	v_pk_add_f16 v71, v76, v72
	;; [unrolled: 1-line block ×3, first 2 shown]
	v_add_f16_e32 v169, v174, v169
	v_add_f16_e32 v157, v157, v175
	;; [unrolled: 1-line block ×3, first 2 shown]
	v_pk_add_f16 v69, v74, v69
	v_bfi_b32 v73, 0xffff, v73, v188
	v_pack_b32_f16 v75, v171, v172
	v_alignbit_b32 v71, v71, v70, 16
	v_pack_b32_f16 v70, v72, v70
	v_pack_b32_f16 v72, v164, v167
	;; [unrolled: 1-line block ×3, first 2 shown]
	v_pk_add_f16 v69, v73, v69
	v_pack_b32_f16 v73, v160, v165
	ds_write2_b32 v94, v163, v162 offset0:2 offset1:3
	ds_write_b32 v94, v75 offset:16
	ds_write2_b32 v94, v70, v71 offset0:5 offset1:6
	ds_write2_b32 v94, v74, v72 offset0:7 offset1:8
	;; [unrolled: 1-line block ×3, first 2 shown]
	s_and_saveexec_b32 s1, vcc_lo
	s_cbranch_execz .LBB0_17
; %bb.16:
	v_mul_f16_e32 v72, 0xbb47, v118
	v_mul_f16_e32 v76, 0xba0c, v119
	;; [unrolled: 1-line block ×5, first 2 shown]
	v_sub_f16_e32 v72, v139, v72
	v_sub_f16_e32 v76, v143, v76
	v_mul_f16_e32 v78, 0xba0c, v118
	v_mul_f16_e32 v160, 0x3beb, v119
	v_add_f16_e32 v62, v62, v56
	v_add_f16_e32 v72, v106, v72
	v_mul_f16_e32 v165, 0xb853, v121
	v_fmamk_f16 v159, v144, 0xb93d, v78
	v_fmamk_f16 v164, v148, 0xb08e, v160
	v_add_f16_e32 v62, v67, v62
	v_add_f16_e32 v72, v76, v72
	v_sub_f16_e32 v76, v146, v157
	v_add_f16_e32 v159, v106, v159
	v_mul_f16_e32 v168, 0xba0c, v138
	v_mul_f16_e32 v69, 0x3abb, v61
	v_mul_f16_e32 v169, 0xb482, v123
	v_add_f16_e32 v72, v76, v72
	v_sub_f16_e32 v76, v152, v163
	v_add_f16_e32 v159, v164, v159
	v_fmamk_f16 v164, v150, 0x3abb, v165
	v_add_f16_e32 v62, v68, v62
	v_fma_f16 v171, v61, 0xb93d, -v168
	v_add_f16_e32 v72, v76, v72
	v_sub_f16_e32 v76, v154, v173
	v_mul_f16_e32 v172, 0x3beb, v141
	v_fma_f16 v78, v144, 0xb93d, -v78
	v_mul_f16_e32 v73, 0x36a6, v63
	v_add_f16_e32 v159, v164, v159
	v_add_f16_e32 v72, v76, v72
	;; [unrolled: 1-line block ×3, first 2 shown]
	v_fmamk_f16 v164, v151, 0xbbad, v169
	v_add_f16_e32 v62, v65, v62
	v_add_f16_e32 v171, v56, v171
	v_fma_f16 v174, v63, 0xb08e, -v172
	v_add_f16_e32 v67, v117, v76
	v_mul_f16_e32 v175, 0xb853, v145
	v_add_f16_e32 v78, v106, v78
	v_fma_f16 v160, v148, 0xb08e, -v160
	v_mul_f16_e32 v77, 0xb08e, v120
	v_add_f16_e32 v67, v111, v67
	v_add_f16_e32 v159, v164, v159
	v_mul_f16_e32 v164, 0xbbad, v144
	v_add_f16_e32 v62, v66, v62
	v_add_f16_e32 v171, v174, v171
	;; [unrolled: 1-line block ×4, first 2 shown]
	v_fma_f16 v174, v120, 0x3abb, -v175
	v_mul_f16_e32 v177, 0xb482, v149
	v_fmac_f16_e32 v168, 0xb93d, v61
	v_add_f16_e32 v65, v116, v65
	v_add_f16_e32 v66, v56, v67
	;; [unrolled: 1-line block ×4, first 2 shown]
	v_fma_f16 v160, v150, 0x3abb, -v165
	v_mul_f16_e32 v144, 0xb08e, v144
	v_mul_f16_e32 v158, 0xb93d, v122
	;; [unrolled: 1-line block ×3, first 2 shown]
	v_fmamk_f16 v178, v118, 0x3482, v164
	v_mul_f16_e32 v179, 0x3abb, v148
	v_add_f16_e32 v60, v60, v62
	v_add_f16_e32 v62, v110, v65
	v_fmac_f16_e32 v164, 0xb482, v118
	v_add_f16_e32 v65, v67, v66
	v_add_f16_e32 v66, v77, v127
	v_mul_f16_e32 v70, 0xb853, v118
	v_add_f16_e32 v171, v174, v171
	v_fma_f16 v174, v122, 0xbbad, -v177
	v_add_f16_e32 v168, v56, v168
	v_fmac_f16_e32 v172, 0xb08e, v63
	v_add_f16_e32 v78, v160, v78
	v_fma_f16 v160, v151, 0xbbad, -v169
	v_fmamk_f16 v169, v118, 0x3beb, v144
	v_mul_f16_e32 v148, 0xbbad, v148
	v_mul_f16_e32 v166, 0xbbad, v126
	v_fmamk_f16 v180, v155, 0x36a6, v176
	v_fmamk_f16 v181, v119, 0xb853, v179
	v_mul_f16_e32 v182, 0xb93d, v150
	v_add_f16_e32 v60, v64, v60
	v_add_f16_e32 v62, v112, v62
	;; [unrolled: 1-line block ×3, first 2 shown]
	v_fmac_f16_e32 v179, 0x3853, v119
	v_add_f16_e32 v65, v66, v65
	v_add_f16_e32 v66, v158, v130
	v_mul_f16_e32 v71, 0x36a6, v61
	v_mul_f16_e32 v74, 0xbb47, v119
	v_add_f16_e32 v178, v106, v178
	v_add_f16_e32 v171, v174, v171
	v_mul_f16_e32 v174, 0xb482, v138
	v_add_f16_e32 v165, v172, v168
	v_add_f16_e32 v78, v160, v78
	v_fma_f16 v160, v155, 0x36a6, -v176
	v_add_f16_e32 v169, v106, v169
	v_fmamk_f16 v172, v119, 0xb482, v148
	v_mul_f16_e32 v150, 0x36a6, v150
	v_mul_f16_e32 v138, 0xbbeb, v138
	v_sub_f16_e32 v70, v129, v70
	v_add_f16_e32 v159, v180, v159
	v_fmamk_f16 v180, v121, 0x3a0c, v182
	v_add_f16_e32 v55, v55, v60
	v_add_f16_e32 v60, v115, v62
	;; [unrolled: 1-line block ×3, first 2 shown]
	v_fmac_f16_e32 v182, 0xba0c, v121
	v_add_f16_e32 v64, v66, v65
	v_add_f16_e32 v65, v166, v136
	v_mul_f16_e32 v75, 0xb93d, v63
	v_mul_f16_e32 v94, 0xbbeb, v121
	v_add_f16_e32 v178, v181, v178
	v_mul_f16_e32 v181, 0x36a6, v151
	v_mul_f16_e32 v183, 0x3b47, v153
	v_fmamk_f16 v184, v61, 0xbbad, v174
	v_mul_f16_e32 v185, 0x3853, v141
	v_add_f16_e32 v78, v160, v78
	v_add_f16_e32 v160, v172, v169
	v_fmamk_f16 v169, v121, 0xbb47, v150
	v_mul_f16_e32 v151, 0x3abb, v151
	v_fmamk_f16 v172, v61, 0xb08e, v138
	v_mul_f16_e32 v141, 0x3482, v141
	v_add_f16_e32 v71, v71, v133
	v_add_f16_e32 v70, v106, v70
	v_sub_f16_e32 v74, v132, v74
	v_add_f16_e32 v55, v57, v55
	v_add_f16_e32 v57, v109, v60
	;; [unrolled: 1-line block ×4, first 2 shown]
	v_fma_f16 v64, v61, 0xbbad, -v174
	v_fmac_f16_e32 v144, 0xbbeb, v118
	v_fma_f16 v61, v61, 0xb08e, -v138
	v_mul_f16_e32 v156, 0xbbad, v120
	v_mul_f16_e32 v161, 0xba0c, v123
	v_add_f16_e32 v178, v180, v178
	v_fmamk_f16 v180, v123, 0xbb47, v181
	v_mul_f16_e32 v186, 0xb08e, v155
	v_add_f16_e32 v184, v56, v184
	v_fmamk_f16 v187, v63, 0x3abb, v185
	v_mul_f16_e32 v188, 0xba0c, v145
	v_fma_f16 v189, v126, 0x36a6, -v183
	v_add_f16_e32 v160, v169, v160
	v_fmamk_f16 v139, v123, 0x3853, v151
	v_add_f16_e32 v169, v56, v172
	v_fmamk_f16 v172, v63, 0xbbad, v141
	v_mul_f16_e32 v145, 0x3b47, v145
	v_add_f16_e32 v71, v56, v71
	v_add_f16_e32 v75, v75, v135
	;; [unrolled: 1-line block ×3, first 2 shown]
	v_sub_f16_e32 v74, v131, v94
	v_add_f16_e32 v64, v56, v64
	v_fma_f16 v65, v63, 0x3abb, -v185
	v_add_f16_e32 v66, v106, v144
	v_fmac_f16_e32 v148, 0x3482, v119
	v_add_f16_e32 v56, v56, v61
	v_fma_f16 v61, v63, 0xbbad, -v141
	v_mul_f16_e32 v162, 0xb08e, v122
	v_mul_f16_e32 v167, 0xb482, v128
	v_add_f16_e32 v178, v180, v178
	v_fmamk_f16 v180, v128, 0x3beb, v186
	v_add_f16_e32 v184, v187, v184
	v_fmamk_f16 v187, v120, 0xb93d, v188
	v_add_f16_e32 v171, v189, v171
	v_mul_f16_e32 v189, 0x3b47, v149
	v_add_f16_e32 v139, v139, v160
	v_add_f16_e32 v143, v172, v169
	v_fmamk_f16 v160, v120, 0x36a6, v145
	v_mul_f16_e32 v149, 0xb853, v149
	v_add_f16_e32 v71, v75, v71
	v_add_f16_e32 v75, v156, v140
	;; [unrolled: 1-line block ×3, first 2 shown]
	v_sub_f16_e32 v70, v134, v161
	v_fmac_f16_e32 v175, 0x3abb, v120
	v_add_f16_e32 v63, v65, v64
	v_fma_f16 v64, v120, 0xb93d, -v188
	v_add_f16_e32 v65, v148, v66
	v_fmac_f16_e32 v150, 0x3b47, v121
	v_add_f16_e32 v56, v61, v56
	v_fma_f16 v61, v120, 0x36a6, -v145
	v_mul_f16_e32 v170, 0x3abb, v126
	v_add_f16_e32 v178, v180, v178
	v_add_f16_e32 v180, v187, v184
	v_mul_f16_e32 v187, 0xbbeb, v153
	v_mul_f16_e32 v146, 0xb93d, v155
	v_add_f16_e32 v143, v160, v143
	v_fmamk_f16 v155, v122, 0x3abb, v149
	v_mul_f16_e32 v153, 0xba0c, v153
	v_add_f16_e32 v71, v75, v71
	v_add_f16_e32 v75, v162, v137
	;; [unrolled: 1-line block ×3, first 2 shown]
	v_sub_f16_e32 v69, v142, v167
	v_fmamk_f16 v184, v122, 0x36a6, v189
	v_add_f16_e32 v165, v175, v165
	v_fmac_f16_e32 v177, 0xbbad, v122
	v_fmac_f16_e32 v181, 0x3b47, v123
	v_add_f16_e32 v63, v64, v63
	v_fma_f16 v64, v122, 0x36a6, -v189
	v_add_f16_e32 v65, v150, v65
	v_fmac_f16_e32 v151, 0xb853, v123
	v_add_f16_e32 v56, v61, v56
	v_fma_f16 v61, v122, 0x3abb, -v149
	v_fmamk_f16 v152, v128, 0x3a0c, v146
	v_add_f16_e32 v133, v155, v143
	v_fmamk_f16 v143, v126, 0xb93d, v153
	v_add_f16_e32 v71, v75, v71
	v_add_f16_e32 v75, v170, v147
	;; [unrolled: 1-line block ×6, first 2 shown]
	v_fmamk_f16 v184, v126, 0xb08e, v187
	v_add_f16_e32 v165, v177, v165
	v_fmac_f16_e32 v183, 0x36a6, v126
	v_add_f16_e32 v60, v181, v60
	v_fmac_f16_e32 v186, 0xbbeb, v128
	v_add_f16_e32 v63, v64, v63
	v_fma_f16 v64, v126, 0xb08e, -v187
	v_add_f16_e32 v65, v151, v65
	v_fmac_f16_e32 v146, 0xba0c, v128
	v_add_f16_e32 v56, v61, v56
	v_fma_f16 v61, v126, 0xb93d, -v153
	v_add_f16_e32 v135, v152, v139
	v_add_f16_e32 v129, v143, v133
	;; [unrolled: 1-line block ×3, first 2 shown]
	v_lshlrev_b32_e32 v66, 2, v93
	v_pack_b32_f16 v62, v62, v68
	v_pack_b32_f16 v55, v55, v57
	v_add_f16_e32 v168, v184, v180
	v_add_f16_e32 v165, v183, v165
	;; [unrolled: 1-line block ×6, first 2 shown]
	ds_write2_b32 v66, v55, v62 offset1:1
	v_pack_b32_f16 v55, v71, v72
	v_pack_b32_f16 v61, v129, v135
	;; [unrolled: 1-line block ×7, first 2 shown]
	v_perm_b32 v60, v107, v58, 0x5040100
	v_perm_b32 v63, v108, v59, 0x5040100
	ds_write2_b32 v66, v55, v61 offset0:2 offset1:3
	ds_write2_b32 v66, v64, v62 offset0:4 offset1:5
	;; [unrolled: 1-line block ×4, first 2 shown]
	ds_write_b32 v66, v63 offset:40
.LBB0_17:
	s_or_b32 exec_lo, exec_lo, s1
	v_add_nc_u32_e32 v57, 0x200, v79
	v_add_nc_u32_e32 v60, 0x600, v79
	;; [unrolled: 1-line block ×3, first 2 shown]
	s_waitcnt lgkmcnt(0)
	s_barrier
	buffer_gl0_inv
	ds_read2_b32 v[55:56], v79 offset1:55
	v_add_nc_u32_e32 v63, 0xc00, v79
	ds_read2_b32 v[74:75], v57 offset0:103 offset1:158
	ds_read2_b32 v[72:73], v60 offset0:78 offset1:133
	v_add_nc_u32_e32 v57, 0x400, v79
	v_add_nc_u32_e32 v78, 0x1000, v79
	ds_read2_b32 v[76:77], v62 offset0:181 offset1:236
	ds_read2_b32 v[70:71], v63 offset0:156 offset1:211
	;; [unrolled: 1-line block ×7, first 2 shown]
	s_and_saveexec_b32 s1, s0
	s_cbranch_execz .LBB0_19
; %bb.18:
	v_add_nc_u32_e32 v35, 0x340, v79
	v_add_nc_u32_e32 v36, 0xa80, v79
	ds_read2_b32 v[58:59], v35 offset0:12 offset1:243
	ds_read2_b32 v[35:36], v36 offset0:10 offset1:241
	ds_read_b32 v95, v79 offset:4576
	s_waitcnt lgkmcnt(2)
	v_lshrrev_b32_e32 v107, 16, v58
	v_lshrrev_b32_e32 v108, 16, v59
	s_waitcnt lgkmcnt(1)
	v_lshrrev_b32_e32 v99, 16, v35
	v_lshrrev_b32_e32 v97, 16, v36
	s_waitcnt lgkmcnt(0)
	v_lshrrev_b32_e32 v96, 16, v95
.LBB0_19:
	s_or_b32 exec_lo, exec_lo, s1
	s_waitcnt lgkmcnt(8)
	v_lshrrev_b32_e32 v104, 16, v74
	s_waitcnt lgkmcnt(7)
	v_lshrrev_b32_e32 v105, 16, v72
	;; [unrolled: 2-line block ×4, first 2 shown]
	v_mul_f16_sdwa v121, v16, v74 dst_sel:DWORD dst_unused:UNUSED_PAD src0_sel:WORD_1 src1_sel:DWORD
	v_mul_f16_sdwa v120, v16, v104 dst_sel:DWORD dst_unused:UNUSED_PAD src0_sel:WORD_1 src1_sel:DWORD
	;; [unrolled: 1-line block ×3, first 2 shown]
	v_lshrrev_b32_e32 v110, 16, v75
	v_lshrrev_b32_e32 v111, 16, v73
	;; [unrolled: 1-line block ×3, first 2 shown]
	v_fmac_f16_e32 v120, v16, v74
	v_fma_f16 v16, v16, v104, -v121
	v_fmac_f16_e32 v122, v17, v72
	v_mul_f16_sdwa v72, v17, v72 dst_sel:DWORD dst_unused:UNUSED_PAD src0_sel:WORD_1 src1_sel:DWORD
	v_mul_f16_sdwa v74, v18, v106 dst_sel:DWORD dst_unused:UNUSED_PAD src0_sel:WORD_1 src1_sel:DWORD
	;; [unrolled: 1-line block ×4, first 2 shown]
	s_waitcnt lgkmcnt(3)
	v_lshrrev_b32_e32 v114, 16, v68
	v_mul_f16_sdwa v125, v19, v70 dst_sel:DWORD dst_unused:UNUSED_PAD src0_sel:WORD_1 src1_sel:DWORD
	v_fma_f16 v17, v17, v105, -v72
	v_fmac_f16_e32 v74, v18, v76
	v_fma_f16 v18, v18, v106, -v104
	v_fmac_f16_e32 v121, v19, v70
	v_mul_f16_sdwa v70, v12, v110 dst_sel:DWORD dst_unused:UNUSED_PAD src0_sel:WORD_1 src1_sel:DWORD
	v_mul_f16_sdwa v72, v12, v75 dst_sel:DWORD dst_unused:UNUSED_PAD src0_sel:WORD_1 src1_sel:DWORD
	;; [unrolled: 1-line block ×5, first 2 shown]
	v_lshrrev_b32_e32 v113, 16, v71
	s_waitcnt lgkmcnt(0)
	v_lshrrev_b32_e32 v117, 16, v62
	v_fmac_f16_e32 v70, v12, v75
	v_fma_f16 v12, v12, v110, -v72
	v_fmac_f16_e32 v76, v13, v73
	v_fma_f16 v13, v13, v111, -v104
	v_fmac_f16_e32 v105, v14, v77
	v_mul_f16_sdwa v72, v14, v77 dst_sel:DWORD dst_unused:UNUSED_PAD src0_sel:WORD_1 src1_sel:DWORD
	v_mul_f16_sdwa v77, v8, v114 dst_sel:DWORD dst_unused:UNUSED_PAD src0_sel:WORD_1 src1_sel:DWORD
	v_mul_f16_sdwa v104, v8, v68 dst_sel:DWORD dst_unused:UNUSED_PAD src0_sel:WORD_1 src1_sel:DWORD
	v_lshrrev_b32_e32 v115, 16, v66
	v_lshrrev_b32_e32 v116, 16, v64
	v_mul_f16_sdwa v73, v15, v113 dst_sel:DWORD dst_unused:UNUSED_PAD src0_sel:WORD_1 src1_sel:DWORD
	v_mul_f16_sdwa v75, v15, v71 dst_sel:DWORD dst_unused:UNUSED_PAD src0_sel:WORD_1 src1_sel:DWORD
	v_fmac_f16_e32 v77, v8, v68
	v_fma_f16 v8, v8, v114, -v104
	v_mul_f16_sdwa v104, v11, v117 dst_sel:DWORD dst_unused:UNUSED_PAD src0_sel:WORD_1 src1_sel:DWORD
	v_lshrrev_b32_e32 v118, 16, v69
	v_lshrrev_b32_e32 v119, 16, v67
	v_fma_f16 v14, v14, v112, -v72
	v_fmac_f16_e32 v73, v15, v71
	v_fma_f16 v15, v15, v113, -v75
	v_mul_f16_sdwa v68, v9, v115 dst_sel:DWORD dst_unused:UNUSED_PAD src0_sel:WORD_1 src1_sel:DWORD
	v_mul_f16_sdwa v71, v9, v66 dst_sel:DWORD dst_unused:UNUSED_PAD src0_sel:WORD_1 src1_sel:DWORD
	;; [unrolled: 1-line block ×4, first 2 shown]
	v_fmac_f16_e32 v104, v11, v62
	v_mul_f16_sdwa v62, v11, v62 dst_sel:DWORD dst_unused:UNUSED_PAD src0_sel:WORD_1 src1_sel:DWORD
	v_lshrrev_b32_e32 v123, 16, v65
	v_fma_f16 v19, v19, v109, -v125
	v_fmac_f16_e32 v68, v9, v66
	v_fma_f16 v9, v9, v115, -v71
	v_fmac_f16_e32 v72, v10, v64
	v_fma_f16 v10, v10, v116, -v75
	v_mul_f16_sdwa v64, v4, v118 dst_sel:DWORD dst_unused:UNUSED_PAD src0_sel:WORD_1 src1_sel:DWORD
	v_mul_f16_sdwa v66, v4, v69 dst_sel:DWORD dst_unused:UNUSED_PAD src0_sel:WORD_1 src1_sel:DWORD
	;; [unrolled: 1-line block ×4, first 2 shown]
	v_fma_f16 v11, v11, v117, -v62
	v_add_f16_e32 v62, v122, v74
	v_lshrrev_b32_e32 v124, 16, v63
	v_fmac_f16_e32 v64, v4, v69
	v_fma_f16 v4, v4, v118, -v66
	v_fmac_f16_e32 v71, v5, v67
	v_fma_f16 v5, v5, v119, -v75
	v_mul_f16_sdwa v66, v6, v123 dst_sel:DWORD dst_unused:UNUSED_PAD src0_sel:WORD_1 src1_sel:DWORD
	v_mul_f16_sdwa v67, v6, v65 dst_sel:DWORD dst_unused:UNUSED_PAD src0_sel:WORD_1 src1_sel:DWORD
	v_add_f16_e32 v75, v55, v120
	v_fma_f16 v62, -0.5, v62, v55
	v_sub_f16_e32 v106, v16, v19
	v_lshrrev_b32_e32 v94, 16, v55
	v_mul_f16_sdwa v69, v7, v124 dst_sel:DWORD dst_unused:UNUSED_PAD src0_sel:WORD_1 src1_sel:DWORD
	v_fmac_f16_e32 v66, v6, v65
	v_fma_f16 v6, v6, v123, -v67
	v_add_f16_e32 v65, v75, v122
	v_fmamk_f16 v67, v106, 0xbb9c, v62
	v_sub_f16_e32 v75, v17, v18
	v_sub_f16_e32 v109, v120, v122
	;; [unrolled: 1-line block ×3, first 2 shown]
	v_add_f16_e32 v111, v120, v121
	v_fmac_f16_e32 v62, 0x3b9c, v106
	v_fmac_f16_e32 v69, v7, v63
	v_mul_f16_sdwa v63, v7, v63 dst_sel:DWORD dst_unused:UNUSED_PAD src0_sel:WORD_1 src1_sel:DWORD
	v_add_f16_e32 v65, v65, v74
	v_fmac_f16_e32 v67, 0xb8b4, v75
	v_add_f16_e32 v109, v109, v110
	v_fma_f16 v55, -0.5, v111, v55
	v_sub_f16_e32 v110, v122, v120
	v_sub_f16_e32 v111, v74, v121
	v_fmac_f16_e32 v62, 0x38b4, v75
	v_add_f16_e32 v112, v94, v16
	v_add_f16_e32 v113, v17, v18
	v_fma_f16 v7, v7, v124, -v63
	v_add_f16_e32 v63, v65, v121
	v_fmac_f16_e32 v67, 0x34f2, v109
	v_fmamk_f16 v65, v75, 0x3b9c, v55
	v_add_f16_e32 v110, v110, v111
	v_fmac_f16_e32 v55, 0xbb9c, v75
	v_add_f16_e32 v75, v112, v17
	v_fma_f16 v111, -0.5, v113, v94
	v_sub_f16_e32 v112, v120, v121
	v_fmac_f16_e32 v62, 0x34f2, v109
	v_add_f16_e32 v109, v16, v19
	v_sub_f16_e32 v113, v16, v17
	v_sub_f16_e32 v16, v17, v16
	;; [unrolled: 1-line block ×3, first 2 shown]
	v_fmac_f16_e32 v65, 0xb8b4, v106
	v_fmac_f16_e32 v55, 0x38b4, v106
	v_add_f16_e32 v75, v75, v18
	v_fmamk_f16 v106, v112, 0x3b9c, v111
	v_sub_f16_e32 v74, v122, v74
	v_sub_f16_e32 v114, v19, v18
	v_fmac_f16_e32 v94, -0.5, v109
	v_fmac_f16_e32 v111, 0xbb9c, v112
	v_add_f16_e32 v18, v76, v105
	v_add_f16_e32 v16, v16, v17
	;; [unrolled: 1-line block ×3, first 2 shown]
	v_lshrrev_b32_e32 v93, 16, v56
	v_fmac_f16_e32 v65, 0x34f2, v110
	v_fmac_f16_e32 v55, 0x34f2, v110
	v_add_f16_e32 v75, v75, v19
	v_fmac_f16_e32 v106, 0x38b4, v74
	v_add_f16_e32 v109, v113, v114
	v_fmamk_f16 v110, v74, 0xbb9c, v94
	v_fmac_f16_e32 v111, 0xb8b4, v74
	v_fma_f16 v18, -0.5, v18, v56
	v_sub_f16_e32 v19, v12, v15
	v_fmac_f16_e32 v94, 0x3b9c, v74
	v_add_f16_e32 v17, v17, v76
	v_add_f16_e32 v115, v70, v73
	v_fmac_f16_e32 v106, 0x34f2, v109
	v_fmac_f16_e32 v110, 0x38b4, v112
	;; [unrolled: 1-line block ×3, first 2 shown]
	v_fmamk_f16 v74, v19, 0xbb9c, v18
	v_sub_f16_e32 v109, v13, v14
	v_sub_f16_e32 v113, v70, v76
	v_sub_f16_e32 v114, v73, v105
	v_fmac_f16_e32 v94, 0xb8b4, v112
	v_add_f16_e32 v17, v17, v105
	v_fmac_f16_e32 v56, -0.5, v115
	v_fmac_f16_e32 v18, 0x3b9c, v19
	v_add_f16_e32 v115, v93, v12
	v_fmac_f16_e32 v110, 0x34f2, v16
	v_fmac_f16_e32 v74, 0xb8b4, v109
	v_add_f16_e32 v112, v113, v114
	v_fmac_f16_e32 v94, 0x34f2, v16
	v_add_f16_e32 v16, v17, v73
	v_fmamk_f16 v17, v109, 0x3b9c, v56
	v_sub_f16_e32 v113, v76, v70
	v_sub_f16_e32 v114, v105, v73
	v_fmac_f16_e32 v18, 0x38b4, v109
	v_add_f16_e32 v116, v13, v14
	v_fmac_f16_e32 v56, 0xbb9c, v109
	v_add_f16_e32 v109, v115, v13
	;; [unrolled: 2-line block ×3, first 2 shown]
	v_fma_f16 v114, -0.5, v116, v93
	v_sub_f16_e32 v70, v70, v73
	v_fmac_f16_e32 v56, 0x38b4, v19
	v_add_f16_e32 v19, v109, v14
	v_add_f16_e32 v109, v12, v15
	v_sub_f16_e32 v76, v76, v105
	v_sub_f16_e32 v105, v12, v13
	;; [unrolled: 1-line block ×4, first 2 shown]
	v_fmac_f16_e32 v74, 0x34f2, v112
	v_fmac_f16_e32 v18, 0x34f2, v112
	v_fmamk_f16 v73, v70, 0x3b9c, v114
	v_sub_f16_e32 v112, v15, v14
	v_fmac_f16_e32 v93, -0.5, v109
	v_fmac_f16_e32 v114, 0xbb9c, v70
	v_add_f16_e32 v14, v68, v72
	v_add_f16_e32 v12, v12, v13
	;; [unrolled: 1-line block ×3, first 2 shown]
	v_lshrrev_b32_e32 v78, 16, v60
	v_fmac_f16_e32 v17, 0x34f2, v113
	v_fmac_f16_e32 v56, 0x34f2, v113
	v_add_f16_e32 v19, v19, v15
	v_fmac_f16_e32 v73, 0x38b4, v76
	v_add_f16_e32 v105, v105, v112
	v_fmamk_f16 v109, v76, 0xbb9c, v93
	v_fmac_f16_e32 v114, 0xb8b4, v76
	v_fma_f16 v14, -0.5, v14, v60
	v_sub_f16_e32 v15, v8, v11
	v_fmac_f16_e32 v93, 0x3b9c, v76
	v_add_f16_e32 v13, v13, v68
	v_sub_f16_e32 v112, v77, v68
	v_sub_f16_e32 v113, v104, v72
	v_add_f16_e32 v115, v77, v104
	v_fmac_f16_e32 v73, 0x34f2, v105
	v_fmac_f16_e32 v109, 0x38b4, v70
	v_fmac_f16_e32 v114, 0x34f2, v105
	v_fmamk_f16 v76, v15, 0xbb9c, v14
	v_sub_f16_e32 v105, v9, v10
	v_fmac_f16_e32 v93, 0xb8b4, v70
	v_add_f16_e32 v13, v13, v72
	v_add_f16_e32 v70, v112, v113
	v_fma_f16 v60, -0.5, v115, v60
	v_fmac_f16_e32 v14, 0x3b9c, v15
	v_sub_f16_e32 v112, v68, v77
	v_sub_f16_e32 v113, v72, v104
	v_add_f16_e32 v115, v78, v8
	v_add_f16_e32 v116, v9, v10
	v_fmac_f16_e32 v109, 0x34f2, v12
	v_fmac_f16_e32 v76, 0xb8b4, v105
	;; [unrolled: 1-line block ×3, first 2 shown]
	v_add_f16_e32 v12, v13, v104
	v_fmamk_f16 v13, v105, 0x3b9c, v60
	v_fmac_f16_e32 v14, 0x38b4, v105
	v_add_f16_e32 v112, v112, v113
	v_fmac_f16_e32 v60, 0xbb9c, v105
	v_add_f16_e32 v105, v115, v9
	v_fma_f16 v113, -0.5, v116, v78
	v_sub_f16_e32 v77, v77, v104
	v_add_f16_e32 v104, v8, v11
	v_fmac_f16_e32 v76, 0x34f2, v70
	v_fmac_f16_e32 v13, 0xb8b4, v15
	;; [unrolled: 1-line block ×4, first 2 shown]
	v_add_f16_e32 v15, v105, v10
	v_fmamk_f16 v70, v77, 0x3b9c, v113
	v_sub_f16_e32 v68, v68, v72
	v_sub_f16_e32 v72, v8, v9
	;; [unrolled: 1-line block ×3, first 2 shown]
	v_fmac_f16_e32 v78, -0.5, v104
	v_fmac_f16_e32 v113, 0xbb9c, v77
	v_sub_f16_e32 v8, v9, v8
	v_sub_f16_e32 v9, v10, v11
	v_add_f16_e32 v10, v71, v66
	v_add_f16_e32 v15, v15, v11
	v_fmac_f16_e32 v70, 0x38b4, v68
	v_add_f16_e32 v72, v72, v105
	v_fmamk_f16 v104, v68, 0xbb9c, v78
	v_fmac_f16_e32 v113, 0xb8b4, v68
	v_add_f16_e32 v8, v8, v9
	v_fmac_f16_e32 v78, 0x3b9c, v68
	v_add_f16_e32 v9, v61, v64
	v_fma_f16 v10, -0.5, v10, v61
	v_sub_f16_e32 v11, v4, v7
	v_fmac_f16_e32 v13, 0x34f2, v112
	v_fmac_f16_e32 v60, 0x34f2, v112
	;; [unrolled: 1-line block ×6, first 2 shown]
	v_add_f16_e32 v9, v9, v71
	v_fmamk_f16 v68, v11, 0xbb9c, v10
	v_sub_f16_e32 v72, v5, v6
	v_sub_f16_e32 v77, v64, v71
	;; [unrolled: 1-line block ×3, first 2 shown]
	v_fmac_f16_e32 v10, 0x3b9c, v11
	v_add_f16_e32 v112, v64, v69
	v_lshrrev_b32_e32 v57, 16, v61
	v_add_f16_e32 v9, v9, v66
	v_fmac_f16_e32 v68, 0xb8b4, v72
	v_add_f16_e32 v77, v77, v105
	v_fmac_f16_e32 v10, 0x38b4, v72
	v_fmac_f16_e32 v61, -0.5, v112
	v_sub_f16_e32 v105, v71, v64
	v_sub_f16_e32 v112, v66, v69
	v_fmac_f16_e32 v104, 0x34f2, v8
	v_fmac_f16_e32 v78, 0x34f2, v8
	v_add_f16_e32 v8, v9, v69
	v_fmac_f16_e32 v68, 0x34f2, v77
	v_fmac_f16_e32 v10, 0x34f2, v77
	v_fmamk_f16 v9, v72, 0x3b9c, v61
	v_add_f16_e32 v77, v5, v6
	v_fmac_f16_e32 v61, 0xbb9c, v72
	v_sub_f16_e32 v64, v64, v69
	v_add_f16_e32 v69, v105, v112
	v_add_f16_e32 v105, v4, v7
	;; [unrolled: 1-line block ×3, first 2 shown]
	v_fma_f16 v77, -0.5, v77, v57
	v_fmac_f16_e32 v9, 0xb8b4, v11
	v_fmac_f16_e32 v61, 0x38b4, v11
	v_sub_f16_e32 v66, v71, v66
	v_fmac_f16_e32 v57, -0.5, v105
	v_add_f16_e32 v11, v72, v5
	v_fmamk_f16 v72, v64, 0x3b9c, v77
	v_fmac_f16_e32 v9, 0x34f2, v69
	v_fmac_f16_e32 v61, 0x34f2, v69
	v_sub_f16_e32 v69, v4, v5
	v_sub_f16_e32 v71, v7, v6
	v_fmac_f16_e32 v77, 0xbb9c, v64
	v_fmamk_f16 v105, v66, 0xbb9c, v57
	v_sub_f16_e32 v4, v5, v4
	v_sub_f16_e32 v5, v6, v7
	v_fmac_f16_e32 v57, 0x3b9c, v66
	v_add_f16_e32 v11, v11, v6
	v_fmac_f16_e32 v72, 0x38b4, v66
	v_add_f16_e32 v6, v69, v71
	v_fmac_f16_e32 v77, 0xb8b4, v66
	v_fmac_f16_e32 v105, 0x38b4, v64
	v_add_f16_e32 v4, v4, v5
	v_fmac_f16_e32 v57, 0xb8b4, v64
	v_fmac_f16_e32 v72, 0x34f2, v6
	;; [unrolled: 1-line block ×3, first 2 shown]
	v_pack_b32_f16 v6, v67, v106
	v_fmac_f16_e32 v105, 0x34f2, v4
	v_fmac_f16_e32 v57, 0x34f2, v4
	v_pack_b32_f16 v4, v63, v75
	v_add_f16_e32 v5, v11, v7
	v_pack_b32_f16 v7, v65, v110
	v_pack_b32_f16 v11, v55, v94
	s_barrier
	buffer_gl0_inv
	ds_write2_b32 v100, v4, v6 offset1:11
	ds_write2_b32 v100, v7, v11 offset0:22 offset1:33
	v_pack_b32_f16 v4, v62, v111
	v_pack_b32_f16 v6, v16, v19
	;; [unrolled: 1-line block ×8, first 2 shown]
	ds_write_b32 v100, v4 offset:176
	ds_write2_b32 v102, v6, v7 offset1:11
	ds_write2_b32 v102, v11, v16 offset0:22 offset1:33
	ds_write_b32 v102, v17 offset:176
	ds_write2_b32 v101, v12, v15 offset1:11
	v_pack_b32_f16 v4, v13, v104
	v_pack_b32_f16 v6, v60, v78
	v_pack_b32_f16 v7, v14, v113
	v_pack_b32_f16 v5, v8, v5
	v_pack_b32_f16 v8, v68, v72
	v_pack_b32_f16 v9, v9, v105
	v_pack_b32_f16 v11, v61, v57
	v_pack_b32_f16 v10, v10, v77
	ds_write2_b32 v101, v4, v6 offset0:22 offset1:33
	ds_write_b32 v101, v7 offset:176
	ds_write2_b32 v103, v5, v8 offset1:11
	ds_write2_b32 v103, v9, v11 offset0:22 offset1:33
	ds_write_b32 v103, v10 offset:176
	s_and_saveexec_b32 s1, s0
	s_cbranch_execz .LBB0_21
; %bb.20:
	v_mul_f16_sdwa v4, v0, v59 dst_sel:DWORD dst_unused:UNUSED_PAD src0_sel:WORD_1 src1_sel:DWORD
	v_mul_f16_sdwa v5, v3, v95 dst_sel:DWORD dst_unused:UNUSED_PAD src0_sel:WORD_1 src1_sel:DWORD
	v_mul_f16_sdwa v6, v1, v35 dst_sel:DWORD dst_unused:UNUSED_PAD src0_sel:WORD_1 src1_sel:DWORD
	v_mul_f16_sdwa v8, v2, v97 dst_sel:DWORD dst_unused:UNUSED_PAD src0_sel:WORD_1 src1_sel:DWORD
	v_mul_f16_sdwa v9, v2, v36 dst_sel:DWORD dst_unused:UNUSED_PAD src0_sel:WORD_1 src1_sel:DWORD
	v_mul_f16_sdwa v7, v1, v99 dst_sel:DWORD dst_unused:UNUSED_PAD src0_sel:WORD_1 src1_sel:DWORD
	v_fma_f16 v4, v0, v108, -v4
	v_fma_f16 v5, v3, v96, -v5
	;; [unrolled: 1-line block ×3, first 2 shown]
	v_fmac_f16_e32 v8, v2, v36
	v_mul_f16_sdwa v10, v0, v108 dst_sel:DWORD dst_unused:UNUSED_PAD src0_sel:WORD_1 src1_sel:DWORD
	v_mul_f16_sdwa v11, v3, v96 dst_sel:DWORD dst_unused:UNUSED_PAD src0_sel:WORD_1 src1_sel:DWORD
	v_fma_f16 v2, v2, v97, -v9
	v_fmac_f16_e32 v7, v1, v35
	v_add_f16_e32 v1, v4, v5
	v_fmac_f16_e32 v10, v0, v59
	v_fmac_f16_e32 v11, v3, v95
	v_sub_f16_e32 v0, v6, v4
	v_sub_f16_e32 v3, v2, v5
	v_add_f16_e32 v14, v6, v2
	v_sub_f16_e32 v9, v7, v8
	v_fma_f16 v1, -0.5, v1, v107
	v_sub_f16_e32 v13, v10, v11
	v_add_f16_e32 v0, v0, v3
	v_fma_f16 v3, -0.5, v14, v107
	v_sub_f16_e32 v14, v4, v6
	v_fmamk_f16 v12, v9, 0x3b9c, v1
	v_sub_f16_e32 v15, v5, v2
	v_fmac_f16_e32 v1, 0xbb9c, v9
	v_fmamk_f16 v16, v13, 0xbb9c, v3
	v_fmac_f16_e32 v3, 0x3b9c, v13
	v_add_f16_e32 v17, v107, v4
	v_fmac_f16_e32 v12, 0xb8b4, v13
	v_fmac_f16_e32 v1, 0x38b4, v13
	v_add_f16_e32 v13, v14, v15
	v_fmac_f16_e32 v16, 0xb8b4, v9
	v_fmac_f16_e32 v3, 0x38b4, v9
	v_add_f16_e32 v9, v17, v6
	v_add_f16_e32 v14, v10, v11
	v_fmac_f16_e32 v12, 0x34f2, v0
	v_fmac_f16_e32 v1, 0x34f2, v0
	;; [unrolled: 1-line block ×4, first 2 shown]
	v_add_f16_e32 v0, v9, v2
	v_fma_f16 v9, -0.5, v14, v58
	v_sub_f16_e32 v2, v6, v2
	v_sub_f16_e32 v6, v7, v10
	;; [unrolled: 1-line block ×3, first 2 shown]
	v_add_f16_e32 v14, v7, v8
	v_sub_f16_e32 v4, v4, v5
	v_add_f16_e32 v0, v0, v5
	v_fmamk_f16 v15, v2, 0xbb9c, v9
	v_add_f16_e32 v5, v6, v13
	v_fma_f16 v6, -0.5, v14, v58
	v_add_f16_e32 v13, v58, v10
	v_sub_f16_e32 v10, v10, v7
	v_sub_f16_e32 v14, v11, v8
	v_fmac_f16_e32 v9, 0x3b9c, v2
	v_fmamk_f16 v17, v4, 0x3b9c, v6
	v_add_f16_e32 v7, v13, v7
	v_fmac_f16_e32 v6, 0xbb9c, v4
	v_add_f16_e32 v10, v10, v14
	v_fmac_f16_e32 v15, 0x38b4, v4
	v_fmac_f16_e32 v9, 0xb8b4, v4
	v_add_f16_e32 v7, v7, v8
	v_fmac_f16_e32 v6, 0xb8b4, v2
	v_mov_b32_e32 v8, 2
	v_fmac_f16_e32 v17, 0x38b4, v2
	v_fmac_f16_e32 v15, 0x34f2, v5
	v_add_f16_e32 v2, v7, v11
	v_fmac_f16_e32 v6, 0x34f2, v10
	v_lshlrev_b32_sdwa v4, v8, v92 dst_sel:DWORD dst_unused:UNUSED_PAD src0_sel:DWORD src1_sel:WORD_0
	v_fmac_f16_e32 v9, 0x34f2, v5
	v_fmac_f16_e32 v17, 0x34f2, v10
	v_pack_b32_f16 v0, v2, v0
	v_pack_b32_f16 v2, v6, v3
	v_add_nc_u32_e32 v3, 0x1000, v4
	v_pack_b32_f16 v1, v9, v1
	v_pack_b32_f16 v5, v15, v12
	;; [unrolled: 1-line block ×3, first 2 shown]
	ds_write2_b32 v3, v0, v2 offset0:76 offset1:87
	ds_write2_b32 v3, v1, v5 offset0:98 offset1:109
	ds_write_b32 v4, v6 offset:4576
.LBB0_21:
	s_or_b32 exec_lo, exec_lo, s1
	v_add_nc_u32_e32 v3, 0x400, v79
	s_waitcnt lgkmcnt(0)
	s_barrier
	buffer_gl0_inv
	ds_read2_b32 v[5:6], v79 offset0:110 offset1:165
	ds_read2_b32 v[7:8], v3 offset0:74 offset1:129
	v_add_nc_u32_e32 v0, 0x800, v79
	v_add_nc_u32_e32 v2, 0xc00, v79
	;; [unrolled: 1-line block ×4, first 2 shown]
	ds_read2_b32 v[9:10], v3 offset0:184 offset1:239
	ds_read2_b32 v[11:12], v0 offset0:148 offset1:203
	;; [unrolled: 1-line block ×7, first 2 shown]
	ds_read_b32 v19, v79 offset:4400
	ds_read2_b32 v[57:58], v79 offset1:55
	s_waitcnt lgkmcnt(0)
	s_barrier
	buffer_gl0_inv
	s_mov_b32 s4, 0x33a4aea8
	s_mov_b32 s5, 0x3f4c5edd
	v_lshrrev_b32_e32 v61, 16, v10
	v_lshrrev_b32_e32 v62, 16, v11
	;; [unrolled: 1-line block ×6, first 2 shown]
	v_mul_f16_sdwa v92, v21, v7 dst_sel:DWORD dst_unused:UNUSED_PAD src0_sel:WORD_1 src1_sel:DWORD
	v_mul_f16_sdwa v73, v20, v59 dst_sel:DWORD dst_unused:UNUSED_PAD src0_sel:WORD_1 src1_sel:DWORD
	;; [unrolled: 1-line block ×5, first 2 shown]
	v_lshrrev_b32_e32 v65, 16, v17
	v_fmac_f16_e32 v73, v20, v6
	v_mul_f16_sdwa v6, v20, v6 dst_sel:DWORD dst_unused:UNUSED_PAD src0_sel:WORD_1 src1_sel:DWORD
	v_lshrrev_b32_e32 v66, 16, v8
	v_fmac_f16_e32 v78, v21, v7
	v_fma_f16 v7, v21, v60, -v92
	v_fmac_f16_e32 v93, v22, v10
	v_fma_f16 v6, v20, v59, -v6
	v_fma_f16 v10, v22, v61, -v94
	v_mul_f16_sdwa v59, v23, v62 dst_sel:DWORD dst_unused:UNUSED_PAD src0_sel:WORD_1 src1_sel:DWORD
	v_mul_f16_sdwa v60, v23, v11 dst_sel:DWORD dst_unused:UNUSED_PAD src0_sel:WORD_1 src1_sel:DWORD
	;; [unrolled: 1-line block ×5, first 2 shown]
	v_lshrrev_b32_e32 v67, 16, v35
	v_lshrrev_b32_e32 v68, 16, v12
	;; [unrolled: 1-line block ×3, first 2 shown]
	v_fmac_f16_e32 v59, v23, v11
	v_fma_f16 v11, v23, v62, -v60
	v_fmac_f16_e32 v61, v37, v14
	v_fma_f16 v14, v37, v63, -v92
	v_fmac_f16_e32 v94, v38, v15
	v_mul_f16_sdwa v15, v38, v15 dst_sel:DWORD dst_unused:UNUSED_PAD src0_sel:WORD_1 src1_sel:DWORD
	v_mul_f16_sdwa v60, v20, v65 dst_sel:DWORD dst_unused:UNUSED_PAD src0_sel:WORD_1 src1_sel:DWORD
	;; [unrolled: 1-line block ×5, first 2 shown]
	v_lshrrev_b32_e32 v70, 16, v16
	v_lshrrev_b32_e32 v71, 16, v18
	v_fma_f16 v15, v38, v64, -v15
	v_fmac_f16_e32 v60, v20, v17
	v_fma_f16 v17, v20, v65, -v62
	v_fmac_f16_e32 v63, v21, v8
	v_fma_f16 v8, v21, v66, -v92
	v_mul_f16_sdwa v20, v22, v67 dst_sel:DWORD dst_unused:UNUSED_PAD src0_sel:WORD_1 src1_sel:DWORD
	v_mul_f16_sdwa v21, v22, v35 dst_sel:DWORD dst_unused:UNUSED_PAD src0_sel:WORD_1 src1_sel:DWORD
	v_mul_f16_sdwa v62, v23, v68 dst_sel:DWORD dst_unused:UNUSED_PAD src0_sel:WORD_1 src1_sel:DWORD
	v_mul_f16_sdwa v64, v23, v12 dst_sel:DWORD dst_unused:UNUSED_PAD src0_sel:WORD_1 src1_sel:DWORD
	v_mul_f16_sdwa v65, v37, v69 dst_sel:DWORD dst_unused:UNUSED_PAD src0_sel:WORD_1 src1_sel:DWORD
	v_lshrrev_b32_e32 v72, 16, v9
	v_lshrrev_b32_e32 v74, 16, v36
	;; [unrolled: 1-line block ×3, first 2 shown]
	v_fmac_f16_e32 v20, v22, v35
	v_fma_f16 v21, v22, v67, -v21
	v_fmac_f16_e32 v62, v23, v12
	v_fma_f16 v12, v23, v68, -v64
	v_fmac_f16_e32 v65, v37, v55
	v_mul_f16_sdwa v22, v37, v55 dst_sel:DWORD dst_unused:UNUSED_PAD src0_sel:WORD_1 src1_sel:DWORD
	v_mul_f16_sdwa v23, v38, v70 dst_sel:DWORD dst_unused:UNUSED_PAD src0_sel:WORD_1 src1_sel:DWORD
	;; [unrolled: 1-line block ×5, first 2 shown]
	v_lshrrev_b32_e32 v77, 16, v19
	v_fma_f16 v22, v37, v69, -v22
	v_fmac_f16_e32 v23, v38, v16
	v_fma_f16 v16, v38, v70, -v35
	v_fmac_f16_e32 v55, v24, v18
	v_fma_f16 v18, v24, v71, -v64
	v_mul_f16_sdwa v24, v25, v72 dst_sel:DWORD dst_unused:UNUSED_PAD src0_sel:WORD_1 src1_sel:DWORD
	v_mul_f16_sdwa v35, v25, v9 dst_sel:DWORD dst_unused:UNUSED_PAD src0_sel:WORD_1 src1_sel:DWORD
	;; [unrolled: 1-line block ×5, first 2 shown]
	v_lshrrev_b32_e32 v76, 16, v56
	v_fmac_f16_e32 v24, v25, v9
	v_fma_f16 v9, v25, v72, -v35
	v_fmac_f16_e32 v37, v26, v36
	v_fma_f16 v25, v26, v74, -v38
	v_fmac_f16_e32 v64, v27, v13
	v_mul_f16_sdwa v13, v27, v13 dst_sel:DWORD dst_unused:UNUSED_PAD src0_sel:WORD_1 src1_sel:DWORD
	v_mul_f16_sdwa v35, v39, v56 dst_sel:DWORD dst_unused:UNUSED_PAD src0_sel:WORD_1 src1_sel:DWORD
	;; [unrolled: 1-line block ×5, first 2 shown]
	v_fma_f16 v13, v27, v75, -v13
	v_fma_f16 v27, v39, v76, -v35
	v_fmac_f16_e32 v36, v40, v19
	v_fma_f16 v19, v40, v77, -v38
	v_add_f16_e32 v35, v73, v94
	v_add_f16_e32 v38, v6, v15
	v_sub_f16_e32 v6, v6, v15
	v_add_f16_e32 v15, v78, v61
	v_add_f16_e32 v40, v7, v14
	v_fmac_f16_e32 v26, v39, v56
	v_sub_f16_e32 v39, v73, v94
	v_sub_f16_e32 v56, v78, v61
	;; [unrolled: 1-line block ×3, first 2 shown]
	v_add_f16_e32 v14, v93, v59
	v_add_f16_e32 v61, v10, v11
	v_sub_f16_e32 v59, v59, v93
	v_sub_f16_e32 v10, v11, v10
	v_add_f16_e32 v11, v15, v35
	v_add_f16_e32 v66, v40, v38
	v_sub_f16_e32 v67, v15, v35
	v_sub_f16_e32 v68, v40, v38
	;; [unrolled: 1-line block ×6, first 2 shown]
	v_add_f16_e32 v69, v59, v56
	v_add_f16_e32 v70, v10, v7
	v_sub_f16_e32 v71, v59, v56
	v_sub_f16_e32 v72, v10, v7
	;; [unrolled: 1-line block ×3, first 2 shown]
	v_add_f16_e32 v11, v14, v11
	v_add_f16_e32 v14, v61, v66
	v_sub_f16_e32 v7, v7, v6
	v_sub_f16_e32 v59, v39, v59
	v_sub_f16_e32 v10, v6, v10
	v_add_f16_e32 v39, v69, v39
	v_add_f16_e32 v6, v70, v6
	v_add_f16_e32 v61, v57, v11
	v_add_f16_sdwa v57, v57, v14 dst_sel:DWORD dst_unused:UNUSED_PAD src0_sel:WORD_1 src1_sel:DWORD
	v_mul_f16_e32 v35, 0x3a52, v35
	v_mul_f16_e32 v38, 0x3a52, v38
	;; [unrolled: 1-line block ×8, first 2 shown]
	v_fmamk_f16 v11, v11, 0xbcab, v61
	v_fmamk_f16 v14, v14, 0xbcab, v57
	;; [unrolled: 1-line block ×4, first 2 shown]
	v_fma_f16 v66, v67, 0x39e0, -v66
	v_fma_f16 v69, v68, 0x39e0, -v69
	;; [unrolled: 1-line block ×4, first 2 shown]
	v_fmamk_f16 v67, v59, 0xb574, v70
	v_fmamk_f16 v68, v10, 0xb574, v71
	v_fma_f16 v59, v59, 0x3574, -v72
	v_fma_f16 v10, v10, 0x3574, -v73
	;; [unrolled: 1-line block ×4, first 2 shown]
	v_add_f16_e32 v15, v15, v11
	v_add_f16_e32 v40, v40, v14
	;; [unrolled: 1-line block ×6, first 2 shown]
	v_fmac_f16_e32 v67, 0xb70e, v39
	v_fmac_f16_e32 v68, 0xb70e, v6
	v_fmac_f16_e32 v10, 0xb70e, v6
	v_fmac_f16_e32 v59, 0xb70e, v39
	v_fmac_f16_e32 v56, 0xb70e, v39
	v_fmac_f16_e32 v7, 0xb70e, v6
	v_add_f16_e32 v6, v68, v15
	v_sub_f16_e32 v35, v40, v67
	v_add_f16_e32 v38, v10, v11
	v_sub_f16_e32 v39, v14, v59
	v_sub_f16_e32 v10, v11, v10
	v_add_f16_e32 v11, v59, v14
	v_sub_f16_e32 v14, v15, v68
	v_add_f16_e32 v15, v67, v40
	v_add_f16_e32 v40, v60, v23
	v_add_f16_e32 v59, v17, v16
	v_sub_f16_e32 v23, v60, v23
	v_sub_f16_e32 v16, v17, v16
	v_add_f16_e32 v17, v63, v65
	v_add_f16_e32 v60, v8, v22
	v_sub_f16_e32 v63, v63, v65
	v_sub_f16_e32 v8, v8, v22
	v_add_f16_e32 v22, v20, v62
	v_add_f16_e32 v65, v21, v12
	v_sub_f16_e32 v20, v62, v20
	v_sub_f16_e32 v12, v12, v21
	v_add_f16_e32 v21, v17, v40
	v_add_f16_e32 v62, v60, v59
	v_sub_f16_e32 v70, v66, v7
	v_add_f16_e32 v71, v56, v69
	v_add_f16_e32 v7, v7, v66
	v_sub_f16_e32 v56, v69, v56
	v_sub_f16_e32 v66, v17, v40
	;; [unrolled: 1-line block ×7, first 2 shown]
	v_add_f16_e32 v68, v20, v63
	v_add_f16_e32 v69, v12, v8
	v_sub_f16_e32 v72, v20, v63
	v_sub_f16_e32 v73, v12, v8
	v_sub_f16_e32 v63, v63, v23
	v_add_f16_e32 v21, v22, v21
	v_add_f16_e32 v22, v65, v62
	v_sub_f16_e32 v8, v8, v16
	v_sub_f16_e32 v20, v23, v20
	;; [unrolled: 1-line block ×3, first 2 shown]
	v_add_f16_e32 v23, v68, v23
	v_add_f16_e32 v16, v69, v16
	;; [unrolled: 1-line block ×3, first 2 shown]
	v_add_f16_sdwa v58, v58, v22 dst_sel:DWORD dst_unused:UNUSED_PAD src0_sel:WORD_1 src1_sel:DWORD
	v_mul_f16_e32 v40, 0x3a52, v40
	v_mul_f16_e32 v59, 0x3a52, v59
	;; [unrolled: 1-line block ×8, first 2 shown]
	v_fmamk_f16 v21, v21, 0xbcab, v62
	v_fmamk_f16 v22, v22, 0xbcab, v58
	;; [unrolled: 1-line block ×4, first 2 shown]
	v_fma_f16 v65, v66, 0x39e0, -v65
	v_fma_f16 v68, v67, 0x39e0, -v68
	;; [unrolled: 1-line block ×4, first 2 shown]
	v_fmamk_f16 v66, v20, 0xb574, v69
	v_fmamk_f16 v67, v12, 0xb574, v72
	v_fma_f16 v20, v20, 0x3574, -v73
	v_fma_f16 v12, v12, 0x3574, -v74
	;; [unrolled: 1-line block ×3, first 2 shown]
	v_add_f16_e32 v17, v17, v21
	v_add_f16_e32 v60, v60, v22
	v_add_f16_e32 v65, v65, v21
	v_add_f16_e32 v68, v68, v22
	v_add_f16_e32 v21, v40, v21
	v_add_f16_e32 v22, v59, v22
	v_fmac_f16_e32 v66, 0xb70e, v23
	v_fmac_f16_e32 v12, 0xb70e, v16
	;; [unrolled: 1-line block ×3, first 2 shown]
	v_fma_f16 v8, v8, 0xbb00, -v72
	v_fmac_f16_e32 v63, 0xb70e, v23
	v_sub_f16_e32 v23, v60, v66
	v_add_f16_e32 v40, v12, v21
	v_sub_f16_e32 v59, v22, v20
	v_sub_f16_e32 v12, v21, v12
	v_add_f16_e32 v20, v20, v22
	v_add_f16_e32 v21, v66, v60
	;; [unrolled: 1-line block ×4, first 2 shown]
	v_sub_f16_e32 v36, v55, v36
	v_sub_f16_e32 v18, v18, v19
	v_add_f16_e32 v19, v24, v26
	v_add_f16_e32 v55, v9, v27
	v_fmac_f16_e32 v67, 0xb70e, v16
	v_fmac_f16_e32 v8, 0xb70e, v16
	v_sub_f16_e32 v24, v24, v26
	v_sub_f16_e32 v9, v9, v27
	v_add_f16_e32 v26, v37, v64
	v_add_f16_e32 v27, v25, v13
	v_sub_f16_e32 v37, v64, v37
	v_sub_f16_e32 v13, v13, v25
	v_add_f16_e32 v25, v19, v22
	v_add_f16_e32 v64, v55, v60
	;; [unrolled: 1-line block ×3, first 2 shown]
	v_sub_f16_e32 v69, v65, v8
	v_add_f16_e32 v72, v63, v68
	v_add_f16_e32 v8, v8, v65
	v_sub_f16_e32 v63, v68, v63
	v_sub_f16_e32 v17, v17, v67
	;; [unrolled: 1-line block ×8, first 2 shown]
	v_add_f16_e32 v67, v37, v24
	v_add_f16_e32 v68, v13, v9
	v_sub_f16_e32 v73, v37, v24
	v_sub_f16_e32 v74, v13, v9
	;; [unrolled: 1-line block ×3, first 2 shown]
	v_add_f16_e32 v25, v26, v25
	v_add_f16_e32 v26, v27, v64
	v_sub_f16_e32 v9, v9, v18
	v_sub_f16_e32 v37, v36, v37
	;; [unrolled: 1-line block ×3, first 2 shown]
	v_add_f16_e32 v27, v67, v36
	v_add_f16_e32 v18, v68, v18
	;; [unrolled: 1-line block ×3, first 2 shown]
	v_add_f16_sdwa v5, v5, v26 dst_sel:DWORD dst_unused:UNUSED_PAD src0_sel:WORD_1 src1_sel:DWORD
	v_mul_f16_e32 v22, 0x3a52, v22
	v_mul_f16_e32 v60, 0x3a52, v60
	;; [unrolled: 1-line block ×8, first 2 shown]
	v_fmamk_f16 v25, v25, 0xbcab, v36
	v_fmamk_f16 v26, v26, 0xbcab, v5
	;; [unrolled: 1-line block ×4, first 2 shown]
	v_fma_f16 v64, v65, 0x39e0, -v64
	v_fma_f16 v67, v66, 0x39e0, -v67
	v_fma_f16 v22, v65, 0xb9e0, -v22
	v_fma_f16 v60, v66, 0xb9e0, -v60
	v_fmamk_f16 v65, v37, 0xb574, v68
	v_fmamk_f16 v66, v13, 0xb574, v73
	v_fma_f16 v37, v37, 0x3574, -v74
	v_fma_f16 v13, v13, 0x3574, -v75
	;; [unrolled: 1-line block ×3, first 2 shown]
	v_add_f16_e32 v19, v19, v25
	v_add_f16_e32 v64, v64, v25
	;; [unrolled: 1-line block ×4, first 2 shown]
	v_fmac_f16_e32 v13, 0xb70e, v18
	v_fmac_f16_e32 v37, 0xb70e, v27
	v_fma_f16 v9, v9, 0xbb00, -v73
	v_fmac_f16_e32 v65, 0xb70e, v27
	v_fmac_f16_e32 v24, 0xb70e, v27
	v_add_f16_e32 v27, v13, v22
	v_sub_f16_e32 v60, v25, v37
	v_sub_f16_e32 v13, v22, v13
	v_add_f16_e32 v22, v37, v25
	v_pack_b32_f16 v25, v61, v57
	v_pack_b32_f16 v6, v6, v35
	v_add_f16_e32 v55, v55, v26
	v_fmac_f16_e32 v66, 0xb70e, v18
	v_add_f16_e32 v67, v67, v26
	v_fmac_f16_e32 v9, 0xb70e, v18
	ds_write2_b32 v79, v25, v6 offset1:55
	v_pack_b32_f16 v6, v38, v39
	v_pack_b32_f16 v25, v70, v71
	v_add_f16_e32 v18, v66, v19
	v_sub_f16_e32 v26, v55, v65
	v_pack_b32_f16 v7, v7, v56
	v_pack_b32_f16 v10, v10, v11
	v_sub_f16_e32 v68, v64, v9
	v_add_f16_e32 v73, v24, v67
	v_pack_b32_f16 v11, v14, v15
	v_pack_b32_f16 v14, v62, v58
	v_add_f16_e32 v9, v9, v64
	v_sub_f16_e32 v24, v67, v24
	v_pack_b32_f16 v15, v16, v23
	v_pack_b32_f16 v16, v40, v59
	v_sub_f16_e32 v19, v19, v66
	v_add_f16_e32 v35, v65, v55
	v_pack_b32_f16 v23, v69, v72
	v_pack_b32_f16 v8, v8, v63
	ds_write2_b32 v79, v6, v25 offset0:110 offset1:165
	ds_write2_b32 v1, v7, v10 offset0:92 offset1:147
	;; [unrolled: 1-line block ×5, first 2 shown]
	v_pack_b32_f16 v6, v12, v20
	v_pack_b32_f16 v7, v17, v21
	;; [unrolled: 1-line block ×4, first 2 shown]
	v_add_nc_u32_e32 v10, 0xc00, v98
	v_pack_b32_f16 v11, v27, v60
	v_pack_b32_f16 v12, v68, v73
	v_pack_b32_f16 v9, v9, v24
	v_pack_b32_f16 v13, v13, v22
	v_add_nc_u32_e32 v14, 0xe00, v98
	v_pack_b32_f16 v15, v19, v35
	ds_write2_b32 v0, v6, v7 offset0:148 offset1:203
	ds_write2_b32 v10, v5, v8 offset0:2 offset1:57
	;; [unrolled: 1-line block ×4, first 2 shown]
	ds_write_b32 v98, v15 offset:4400
	s_waitcnt lgkmcnt(0)
	s_barrier
	buffer_gl0_inv
	ds_read2_b32 v[5:6], v79 offset1:55
	ds_read2_b32 v[7:8], v3 offset0:74 offset1:129
	ds_read2_b32 v[9:10], v2 offset0:2 offset1:57
	;; [unrolled: 1-line block ×9, first 2 shown]
	ds_read_b32 v27, v79 offset:4400
	s_waitcnt lgkmcnt(10)
	v_lshrrev_b32_e32 v4, 16, v5
	s_waitcnt lgkmcnt(9)
	v_lshrrev_b32_e32 v25, 16, v8
	;; [unrolled: 2-line block ×4, first 2 shown]
	v_mul_f16_sdwa v67, v53, v8 dst_sel:DWORD dst_unused:UNUSED_PAD src0_sel:WORD_1 src1_sel:DWORD
	v_lshrrev_b32_e32 v37, 16, v10
	v_mul_f16_sdwa v65, v53, v25 dst_sel:DWORD dst_unused:UNUSED_PAD src0_sel:WORD_1 src1_sel:DWORD
	v_mul_f16_sdwa v69, v54, v26 dst_sel:DWORD dst_unused:UNUSED_PAD src0_sel:WORD_1 src1_sel:DWORD
	v_lshrrev_b32_e32 v39, 16, v12
	v_fma_f16 v25, v53, v25, -v67
	s_waitcnt lgkmcnt(5)
	v_lshrrev_b32_e32 v40, 16, v15
	v_fmac_f16_e32 v65, v53, v8
	v_mul_f16_sdwa v8, v54, v9 dst_sel:DWORD dst_unused:UNUSED_PAD src0_sel:WORD_1 src1_sel:DWORD
	v_mul_f16_sdwa v53, v51, v36 dst_sel:DWORD dst_unused:UNUSED_PAD src0_sel:WORD_1 src1_sel:DWORD
	v_fmac_f16_e32 v69, v54, v9
	v_mul_f16_sdwa v9, v51, v11 dst_sel:DWORD dst_unused:UNUSED_PAD src0_sel:WORD_1 src1_sel:DWORD
	s_waitcnt lgkmcnt(4)
	v_lshrrev_b32_e32 v56, 16, v17
	v_fma_f16 v8, v54, v26, -v8
	v_mul_f16_sdwa v26, v52, v37 dst_sel:DWORD dst_unused:UNUSED_PAD src0_sel:WORD_1 src1_sel:DWORD
	v_fmac_f16_e32 v53, v51, v11
	v_mul_f16_sdwa v11, v52, v10 dst_sel:DWORD dst_unused:UNUSED_PAD src0_sel:WORD_1 src1_sel:DWORD
	v_fma_f16 v9, v51, v36, -v9
	v_mul_f16_sdwa v36, v43, v39 dst_sel:DWORD dst_unused:UNUSED_PAD src0_sel:WORD_1 src1_sel:DWORD
	v_lshrrev_b32_e32 v57, 16, v16
	v_lshrrev_b32_e32 v59, 16, v18
	s_waitcnt lgkmcnt(2)
	v_lshrrev_b32_e32 v60, 16, v21
	v_fmac_f16_e32 v26, v52, v10
	v_mul_f16_sdwa v10, v43, v12 dst_sel:DWORD dst_unused:UNUSED_PAD src0_sel:WORD_1 src1_sel:DWORD
	v_fma_f16 v11, v52, v37, -v11
	v_mul_f16_sdwa v37, v44, v40 dst_sel:DWORD dst_unused:UNUSED_PAD src0_sel:WORD_1 src1_sel:DWORD
	v_fmac_f16_e32 v36, v43, v12
	v_mul_f16_sdwa v12, v44, v15 dst_sel:DWORD dst_unused:UNUSED_PAD src0_sel:WORD_1 src1_sel:DWORD
	s_waitcnt lgkmcnt(1)
	v_lshrrev_b32_e32 v62, 16, v23
	v_fma_f16 v10, v43, v39, -v10
	v_mul_f16_sdwa v39, v45, v56 dst_sel:DWORD dst_unused:UNUSED_PAD src0_sel:WORD_1 src1_sel:DWORD
	v_fmac_f16_e32 v37, v44, v15
	v_mul_f16_sdwa v15, v45, v17 dst_sel:DWORD dst_unused:UNUSED_PAD src0_sel:WORD_1 src1_sel:DWORD
	v_fma_f16 v12, v44, v40, -v12
	v_mul_f16_sdwa v40, v46, v57 dst_sel:DWORD dst_unused:UNUSED_PAD src0_sel:WORD_1 src1_sel:DWORD
	v_mul_f16_sdwa v43, v49, v59 dst_sel:DWORD dst_unused:UNUSED_PAD src0_sel:WORD_1 src1_sel:DWORD
	;; [unrolled: 1-line block ×3, first 2 shown]
	v_lshrrev_b32_e32 v63, 16, v22
	v_lshrrev_b32_e32 v66, 16, v24
	v_fmac_f16_e32 v39, v45, v17
	v_mul_f16_sdwa v17, v46, v16 dst_sel:DWORD dst_unused:UNUSED_PAD src0_sel:WORD_1 src1_sel:DWORD
	v_fma_f16 v15, v45, v56, -v15
	v_fmac_f16_e32 v40, v46, v16
	v_mul_f16_sdwa v16, v49, v18 dst_sel:DWORD dst_unused:UNUSED_PAD src0_sel:WORD_1 src1_sel:DWORD
	v_fmac_f16_e32 v43, v49, v18
	v_mul_f16_sdwa v18, v50, v21 dst_sel:DWORD dst_unused:UNUSED_PAD src0_sel:WORD_1 src1_sel:DWORD
	v_mul_f16_sdwa v45, v47, v62 dst_sel:DWORD dst_unused:UNUSED_PAD src0_sel:WORD_1 src1_sel:DWORD
	v_fmac_f16_e32 v44, v50, v21
	v_mul_f16_sdwa v21, v47, v23 dst_sel:DWORD dst_unused:UNUSED_PAD src0_sel:WORD_1 src1_sel:DWORD
	s_waitcnt lgkmcnt(0)
	v_lshrrev_b32_e32 v68, 16, v27
	v_fma_f16 v17, v46, v57, -v17
	v_mul_f16_sdwa v46, v48, v63 dst_sel:DWORD dst_unused:UNUSED_PAD src0_sel:WORD_1 src1_sel:DWORD
	v_fmac_f16_e32 v45, v47, v23
	v_mul_f16_sdwa v23, v48, v22 dst_sel:DWORD dst_unused:UNUSED_PAD src0_sel:WORD_1 src1_sel:DWORD
	v_fma_f16 v21, v47, v62, -v21
	v_mul_f16_sdwa v47, v41, v66 dst_sel:DWORD dst_unused:UNUSED_PAD src0_sel:WORD_1 src1_sel:DWORD
	v_fmac_f16_e32 v46, v48, v22
	v_mul_f16_sdwa v22, v41, v24 dst_sel:DWORD dst_unused:UNUSED_PAD src0_sel:WORD_1 src1_sel:DWORD
	;; [unrolled: 4-line block ×3, first 2 shown]
	v_fma_f16 v22, v41, v66, -v22
	v_add_f16_e32 v41, v65, v69
	v_fmac_f16_e32 v48, v42, v27
	v_add_f16_e32 v27, v5, v65
	v_fma_f16 v24, v42, v68, -v24
	v_add_f16_e32 v42, v25, v8
	v_fma_f16 v5, -0.5, v41, v5
	v_sub_f16_e32 v41, v25, v8
	v_add_f16_e32 v25, v4, v25
	v_lshrrev_b32_e32 v35, 16, v6
	v_fmac_f16_e32 v4, -0.5, v42
	v_sub_f16_e32 v42, v65, v69
	v_fma_f16 v16, v49, v59, -v16
	v_fma_f16 v18, v50, v60, -v18
	v_fmamk_f16 v49, v41, 0xbaee, v5
	v_fmac_f16_e32 v5, 0x3aee, v41
	v_add_f16_e32 v8, v25, v8
	v_add_f16_e32 v25, v53, v26
	v_fmamk_f16 v41, v42, 0x3aee, v4
	v_add_f16_e32 v50, v6, v53
	v_fmac_f16_e32 v4, 0xbaee, v42
	v_add_f16_e32 v42, v9, v11
	v_fmac_f16_e32 v6, -0.5, v25
	v_sub_f16_e32 v25, v9, v11
	v_add_f16_e32 v50, v50, v26
	v_add_f16_e32 v9, v35, v9
	v_fmac_f16_e32 v35, -0.5, v42
	v_sub_f16_e32 v26, v53, v26
	v_lshrrev_b32_e32 v38, 16, v13
	v_fmamk_f16 v42, v25, 0xbaee, v6
	v_fmac_f16_e32 v6, 0x3aee, v25
	v_add_f16_e32 v9, v9, v11
	v_add_f16_e32 v11, v36, v37
	v_fmamk_f16 v25, v26, 0x3aee, v35
	v_fmac_f16_e32 v35, 0xbaee, v26
	v_add_f16_e32 v26, v10, v12
	v_add_f16_e32 v51, v13, v36
	v_fma_f16 v11, -0.5, v11, v13
	v_sub_f16_e32 v13, v10, v12
	v_add_f16_e32 v10, v38, v10
	v_fmac_f16_e32 v38, -0.5, v26
	v_sub_f16_e32 v26, v36, v37
	v_lshrrev_b32_e32 v55, 16, v14
	v_fmamk_f16 v36, v13, 0xbaee, v11
	v_fmac_f16_e32 v11, 0x3aee, v13
	v_add_f16_e32 v10, v10, v12
	v_add_f16_e32 v12, v39, v40
	v_fmamk_f16 v13, v26, 0x3aee, v38
	v_fmac_f16_e32 v38, 0xbaee, v26
	v_add_f16_e32 v26, v15, v17
	v_add_f16_e32 v51, v51, v37
	;; [unrolled: 1-line block ×3, first 2 shown]
	v_fmac_f16_e32 v14, -0.5, v12
	v_sub_f16_e32 v12, v15, v17
	v_add_f16_e32 v15, v55, v15
	v_fmac_f16_e32 v55, -0.5, v26
	v_sub_f16_e32 v26, v39, v40
	v_lshrrev_b32_e32 v58, 16, v19
	v_fmamk_f16 v39, v12, 0xbaee, v14
	v_fmac_f16_e32 v14, 0x3aee, v12
	v_add_f16_e32 v12, v15, v17
	v_add_f16_e32 v15, v43, v44
	v_fmamk_f16 v17, v26, 0x3aee, v55
	v_fmac_f16_e32 v55, 0xbaee, v26
	v_add_f16_e32 v26, v16, v18
	v_add_f16_e32 v37, v37, v40
	;; [unrolled: 1-line block ×3, first 2 shown]
	v_fma_f16 v15, -0.5, v15, v19
	v_sub_f16_e32 v19, v16, v18
	v_add_f16_e32 v16, v58, v16
	v_fmac_f16_e32 v58, -0.5, v26
	v_sub_f16_e32 v26, v43, v44
	v_lshrrev_b32_e32 v61, 16, v20
	v_fmamk_f16 v43, v19, 0xbaee, v15
	v_fmac_f16_e32 v15, 0x3aee, v19
	v_add_f16_e32 v16, v16, v18
	v_add_f16_e32 v18, v45, v46
	v_fmamk_f16 v19, v26, 0x3aee, v58
	v_fmac_f16_e32 v58, 0xbaee, v26
	v_add_f16_e32 v26, v21, v23
	v_lshrrev_b32_e32 v64, 16, v7
	v_add_f16_e32 v40, v40, v44
	v_add_f16_e32 v44, v20, v45
	v_fmac_f16_e32 v20, -0.5, v18
	v_sub_f16_e32 v18, v21, v23
	v_add_f16_e32 v21, v61, v21
	v_fmac_f16_e32 v61, -0.5, v26
	v_sub_f16_e32 v26, v45, v46
	v_add_f16_e32 v27, v27, v69
	v_add_f16_e32 v44, v44, v46
	v_fmamk_f16 v45, v18, 0xbaee, v20
	v_add_f16_e32 v46, v47, v48
	v_fmac_f16_e32 v20, 0x3aee, v18
	v_add_f16_e32 v18, v21, v23
	v_fmamk_f16 v21, v26, 0x3aee, v61
	v_fmac_f16_e32 v61, 0xbaee, v26
	v_add_f16_e32 v26, v64, v22
	v_pack_b32_f16 v8, v27, v8
	v_pack_b32_f16 v9, v50, v9
	v_add_f16_e32 v23, v7, v47
	v_fmac_f16_e32 v7, -0.5, v46
	v_sub_f16_e32 v46, v22, v24
	v_add_f16_e32 v22, v22, v24
	v_add_f16_e32 v24, v26, v24
	v_pack_b32_f16 v26, v49, v41
	v_pack_b32_f16 v25, v42, v25
	;; [unrolled: 1-line block ×4, first 2 shown]
	ds_write2_b32 v79, v8, v9 offset1:55
	ds_write2_b32 v3, v26, v25 offset0:129 offset1:184
	v_pack_b32_f16 v8, v51, v10
	v_pack_b32_f16 v10, v11, v38
	;; [unrolled: 1-line block ×3, first 2 shown]
	v_fmac_f16_e32 v64, -0.5, v22
	v_sub_f16_e32 v22, v47, v48
	v_pack_b32_f16 v9, v36, v13
	v_pack_b32_f16 v12, v39, v17
	v_add_nc_u32_e32 v4, 0x600, v79
	ds_write2_b32 v2, v5, v6 offset0:2 offset1:57
	ds_write2_b32 v79, v8, v11 offset0:110 offset1:165
	v_pack_b32_f16 v5, v15, v58
	v_pack_b32_f16 v13, v14, v55
	v_add_f16_e32 v23, v23, v48
	v_fmamk_f16 v52, v46, 0xbaee, v7
	v_fmamk_f16 v27, v22, 0x3aee, v64
	v_fmac_f16_e32 v7, 0x3aee, v46
	v_fmac_f16_e32 v64, 0xbaee, v22
	ds_write2_b32 v4, v9, v12 offset0:111 offset1:166
	ds_write2_b32 v2, v10, v13 offset0:112 offset1:167
	v_pack_b32_f16 v6, v40, v16
	ds_write_b32 v79, v5 offset:3960
	v_pack_b32_f16 v5, v44, v18
	v_pack_b32_f16 v8, v43, v19
	;; [unrolled: 1-line block ×7, first 2 shown]
	v_add_nc_u32_e32 v13, 0x1000, v79
	ds_write2_b32 v1, v6, v5 offset0:92 offset1:147
	ds_write2_b32 v0, v8, v9 offset0:93 offset1:148
	ds_write_b32 v79, v11 offset:1320
	ds_write_b32 v79, v12 offset:2860
	ds_write2_b32 v13, v10, v7 offset0:21 offset1:76
	s_waitcnt lgkmcnt(0)
	s_barrier
	buffer_gl0_inv
	ds_read2_b32 v[5:6], v79 offset1:105
	s_waitcnt lgkmcnt(0)
	v_lshrrev_b32_e32 v9, 16, v5
	v_lshrrev_b32_e32 v16, 16, v6
	v_mul_f16_sdwa v7, v91, v9 dst_sel:DWORD dst_unused:UNUSED_PAD src0_sel:WORD_1 src1_sel:DWORD
	v_mul_f16_sdwa v17, v90, v16 dst_sel:DWORD dst_unused:UNUSED_PAD src0_sel:WORD_1 src1_sel:DWORD
	v_fmac_f16_e32 v7, v91, v5
	v_mul_f16_sdwa v5, v91, v5 dst_sel:DWORD dst_unused:UNUSED_PAD src0_sel:WORD_1 src1_sel:DWORD
	v_fmac_f16_e32 v17, v90, v6
	v_cvt_f32_f16_e32 v7, v7
	v_fma_f16 v5, v91, v9, -v5
	v_cvt_f64_f32_e32 v[7:8], v7
	v_cvt_f32_f16_e32 v5, v5
	v_cvt_f64_f32_e32 v[9:10], v5
	v_mul_f64 v[7:8], v[7:8], s[4:5]
	v_mul_f64 v[9:10], v[9:10], s[4:5]
	v_and_or_b32 v5, 0x1ff, v8, v7
	v_lshrrev_b32_e32 v7, 8, v8
	v_bfe_u32 v11, v8, 20, 11
	v_cmp_ne_u32_e64 s0, 0, v5
	v_and_or_b32 v9, 0x1ff, v10, v9
	v_lshrrev_b32_e32 v13, 8, v10
	v_bfe_u32 v15, v10, 20, 11
	v_add_nc_u32_e32 v19, 0xfffffc10, v11
	v_cndmask_b32_e64 v5, 0, 1, s0
	v_cmp_ne_u32_e64 s0, 0, v9
	v_lshrrev_b32_e32 v10, 16, v10
	v_cmp_gt_i32_e64 s2, 31, v19
	v_and_or_b32 v7, 0xffe, v7, v5
	v_sub_nc_u32_e32 v5, 0x3f1, v11
	v_cndmask_b32_e64 v9, 0, 1, s0
	v_cvt_f32_f16_e32 v11, v17
	v_or_b32_e32 v12, 0x1000, v7
	v_med3_i32 v5, v5, 0, 13
	v_and_or_b32 v9, 0xffe, v13, v9
	v_sub_nc_u32_e32 v13, 0x3f1, v15
	v_lshl_or_b32 v17, v19, 12, v7
	v_lshrrev_b32_e32 v14, v5, v12
	v_or_b32_e32 v18, 0x1000, v9
	v_med3_i32 v13, v13, 0, 13
	v_lshlrev_b32_e32 v5, v5, v14
	v_lshrrev_b32_e32 v20, v13, v18
	v_cmp_ne_u32_e64 s0, v5, v12
	v_cvt_f64_f32_e32 v[11:12], v11
	v_lshlrev_b32_e32 v21, v13, v20
	v_cndmask_b32_e64 v5, 0, 1, s0
	v_cmp_gt_i32_e64 s0, 1, v19
	v_or_b32_e32 v5, v14, v5
	v_mad_u64_u32 v[13:14], null, s10, v34, 0
	v_cndmask_b32_e64 v17, v17, v5, s0
	v_cmp_ne_u32_e64 s0, v21, v18
	v_add_nc_u32_e32 v21, 0xfffffc10, v15
	v_mov_b32_e32 v5, v14
	v_and_b32_e32 v22, 7, v17
	v_cndmask_b32_e64 v18, 0, 1, s0
	v_cmp_gt_i32_e64 s1, 1, v21
	v_lshrrev_b32_e32 v17, 2, v17
	v_mad_u64_u32 v[14:15], null, s11, v34, v[5:6]
	v_or_b32_e32 v18, v20, v18
	v_lshl_or_b32 v20, v21, 12, v9
	v_cmp_lt_i32_e64 s0, 5, v22
	v_mul_f16_sdwa v15, v90, v6 dst_sel:DWORD dst_unused:UNUSED_PAD src0_sel:WORD_1 src1_sel:DWORD
	v_mul_f64 v[5:6], v[11:12], s[4:5]
	v_cndmask_b32_e64 v18, v20, v18, s1
	v_cmp_eq_u32_e64 s1, 3, v22
	v_fma_f16 v11, v90, v16, -v15
	v_and_b32_e32 v12, 7, v18
	s_or_b32 s0, s1, s0
	v_lshrrev_b32_e32 v16, 2, v18
	v_add_co_ci_u32_e64 v15, s0, 0, v17, s0
	v_cmp_ne_u32_e64 s0, 0, v7
	v_cmp_eq_u32_e64 s1, 3, v12
	v_cvt_f32_f16_e32 v11, v11
	v_cndmask_b32_e64 v15, 0x7c00, v15, s2
	v_lshrrev_b32_e32 v18, 16, v8
	v_cndmask_b32_e64 v7, 0, 1, s0
	v_cmp_lt_i32_e64 s0, 5, v12
	v_cvt_f64_f32_e32 v[11:12], v11
	v_lshl_or_b32 v7, v7, 9, 0x7c00
	s_or_b32 s0, s1, s0
	v_and_or_b32 v5, 0x1ff, v6, v5
	v_add_co_ci_u32_e64 v16, s0, 0, v16, s0
	v_cmp_eq_u32_e64 s0, 0x40f, v19
	v_bfe_u32 v20, v6, 20, 11
	v_cndmask_b32_e64 v17, v15, v7, s0
	v_cmp_gt_i32_e64 s0, 31, v21
	v_lshrrev_b32_e32 v15, 8, v6
	v_mad_u64_u32 v[7:8], null, s8, v89, 0
	v_sub_nc_u32_e32 v22, 0x3f1, v20
	v_cndmask_b32_e64 v19, 0x7c00, v16, s0
	v_cmp_ne_u32_e64 s0, 0, v9
	v_mul_f64 v[11:12], v[11:12], s[4:5]
	v_med3_i32 v22, v22, 0, 13
	v_cndmask_b32_e64 v9, 0, 1, s0
	v_cmp_ne_u32_e64 s0, 0, v5
	v_lshl_or_b32 v9, v9, 9, 0x7c00
	v_cndmask_b32_e64 v5, 0, 1, s0
	v_cmp_eq_u32_e64 s0, 0x40f, v21
	v_and_or_b32 v5, 0xffe, v15, v5
	ds_read2_b32 v[15:16], v1 offset0:82 offset1:187
	v_mov_b32_e32 v1, v8
	v_cndmask_b32_e64 v19, v19, v9, s0
	v_or_b32_e32 v21, 0x1000, v5
	v_mad_u64_u32 v[8:9], null, s9, v89, v[1:2]
	v_and_or_b32 v9, 0x8000, v18, v17
	v_lshrrev_b32_e32 v1, v22, v21
	v_and_or_b32 v17, 0x8000, v10, v19
	v_add_nc_u32_e32 v19, 0xfffffc10, v20
	v_and_b32_e32 v18, 0xffff, v9
	v_lshlrev_b32_e32 v10, v22, v1
	v_and_or_b32 v9, 0x1ff, v12, v11
	v_bfe_u32 v22, v12, 20, 11
	v_lshlrev_b64 v[7:8], 2, v[7:8]
	v_lshl_or_b32 v17, v17, 16, v18
	v_cmp_ne_u32_e64 s0, v10, v21
	s_waitcnt lgkmcnt(0)
	v_lshrrev_b32_e32 v11, 16, v15
	v_lshrrev_b32_e32 v21, 8, v12
	v_cndmask_b32_e64 v10, 0, 1, s0
	v_cmp_ne_u32_e64 s0, 0, v9
	v_mul_f16_sdwa v20, v88, v11 dst_sel:DWORD dst_unused:UNUSED_PAD src0_sel:WORD_1 src1_sel:DWORD
	v_or_b32_e32 v1, v1, v10
	v_cndmask_b32_e64 v9, 0, 1, s0
	v_fmac_f16_e32 v20, v88, v15
	v_lshl_or_b32 v10, v19, 12, v5
	v_cmp_gt_i32_e64 s0, 1, v19
	v_and_or_b32 v21, 0xffe, v21, v9
	v_sub_nc_u32_e32 v9, 0x3f1, v22
	v_cvt_f32_f16_e32 v20, v20
	v_cndmask_b32_e64 v1, v10, v1, s0
	v_or_b32_e32 v23, 0x1000, v21
	v_med3_i32 v24, v9, 0, 13
	v_lshlrev_b64 v[9:10], 2, v[13:14]
	v_cvt_f64_f32_e32 v[13:14], v20
	v_and_b32_e32 v18, 7, v1
	v_lshrrev_b32_e32 v1, 2, v1
	v_lshrrev_b32_e32 v20, v24, v23
	v_add_co_u32 v25, s0, s6, v9
	v_add_co_ci_u32_e64 v26, s0, s7, v10, s0
	v_lshlrev_b32_e32 v9, v24, v20
	v_mul_f16_sdwa v10, v88, v15 dst_sel:DWORD dst_unused:UNUSED_PAD src0_sel:WORD_1 src1_sel:DWORD
	v_cmp_lt_i32_e64 s0, 5, v18
	v_cmp_eq_u32_e64 s1, 3, v18
	v_add_nc_u32_e32 v15, 0xfffffc10, v22
	v_cmp_ne_u32_e64 s2, v9, v23
	v_fma_f16 v10, v88, v11, -v10
	s_or_b32 s0, s1, s0
	v_cndmask_b32_e64 v9, 0, 1, s2
	v_add_co_ci_u32_e64 v1, s0, 0, v1, s0
	v_cmp_ne_u32_e64 s0, 0, v5
	v_cvt_f32_f16_e32 v18, v10
	v_or_b32_e32 v11, v20, v9
	v_mul_f64 v[9:10], v[13:14], s[4:5]
	v_lshl_or_b32 v20, v15, 12, v21
	v_cndmask_b32_e64 v5, 0, 1, s0
	v_cmp_gt_i32_e64 s0, 1, v15
	v_cvt_f64_f32_e32 v[13:14], v18
	v_cmp_eq_u32_e64 s2, 0x40f, v19
	v_lshl_or_b32 v5, v5, 9, 0x7c00
	v_cndmask_b32_e64 v11, v20, v11, s0
	v_add_co_u32 v7, s0, v25, v7
	v_add_co_ci_u32_e64 v8, s0, v26, v8, s0
	v_cmp_gt_i32_e64 s0, 31, v19
	v_and_b32_e32 v18, 7, v11
	global_store_dword v[7:8], v17, off
	v_cndmask_b32_e64 v1, 0x7c00, v1, s0
	v_cmp_lt_i32_e64 s0, 5, v18
	v_cmp_eq_u32_e64 s1, 3, v18
	v_and_or_b32 v9, 0x1ff, v10, v9
	v_cndmask_b32_e64 v1, v1, v5, s2
	v_lshrrev_b32_e32 v5, 2, v11
	s_or_b32 s0, s1, s0
	v_lshrrev_b32_e32 v11, 16, v6
	v_bfe_u32 v18, v10, 20, 11
	s_mul_i32 s1, s9, 0x69
	v_add_co_ci_u32_e64 v17, s0, 0, v5, s0
	v_mul_f64 v[5:6], v[13:14], s[4:5]
	v_cmp_ne_u32_e64 s0, 0, v9
	v_lshrrev_b32_e32 v13, 8, v10
	v_lshrrev_b32_e32 v14, 16, v16
	v_sub_nc_u32_e32 v20, 0x3f1, v18
	v_and_or_b32 v1, 0x8000, v11, v1
	v_cndmask_b32_e64 v9, 0, 1, s0
	v_cmp_ne_u32_e64 s0, 0, v21
	v_add_nc_u32_e32 v18, 0xfffffc10, v18
	v_med3_i32 v20, v20, 0, 13
	v_and_b32_e32 v1, 0xffff, v1
	v_and_or_b32 v9, 0xffe, v13, v9
	v_mul_f16_sdwa v13, v87, v14 dst_sel:DWORD dst_unused:UNUSED_PAD src0_sel:WORD_1 src1_sel:DWORD
	v_cndmask_b32_e64 v19, 0, 1, s0
	v_cmp_gt_i32_e64 s0, 31, v15
	s_mul_hi_u32 s2, s8, 0x69
	v_or_b32_e32 v21, 0x1000, v9
	v_fmac_f16_e32 v13, v87, v16
	v_lshl_or_b32 v19, v19, 9, 0x7c00
	v_cndmask_b32_e64 v17, 0x7c00, v17, s0
	v_cmp_eq_u32_e64 s0, 0x40f, v15
	v_mul_f16_sdwa v16, v87, v16 dst_sel:DWORD dst_unused:UNUSED_PAD src0_sel:WORD_1 src1_sel:DWORD
	v_cvt_f32_f16_e32 v13, v13
	v_and_or_b32 v5, 0x1ff, v6, v5
	s_add_i32 s1, s2, s1
	v_cndmask_b32_e64 v15, v17, v19, s0
	v_lshrrev_b32_e32 v17, 16, v12
	v_lshrrev_b32_e32 v19, v20, v21
	v_cvt_f64_f32_e32 v[11:12], v13
	v_cmp_ne_u32_e64 s0, 0, v5
	v_lshrrev_b32_e32 v10, 16, v10
	v_and_or_b32 v13, 0x8000, v17, v15
	v_lshlrev_b32_e32 v15, v20, v19
	v_lshrrev_b32_e32 v17, 8, v6
	v_cndmask_b32_e64 v5, 0, 1, s0
	v_bfe_u32 v20, v6, 20, 11
	v_lshl_or_b32 v1, v13, 16, v1
	v_cmp_ne_u32_e64 s0, v15, v21
	v_fma_f16 v13, v87, v14, -v16
	v_and_or_b32 v5, 0xffe, v17, v5
	v_sub_nc_u32_e32 v17, 0x3f1, v20
	v_cndmask_b32_e64 v15, 0, 1, s0
	v_cmp_gt_i32_e64 s0, 1, v18
	v_or_b32_e32 v21, 0x1000, v5
	v_med3_i32 v17, v17, 0, 13
	v_cvt_f32_f16_e32 v13, v13
	v_or_b32_e32 v15, v19, v15
	v_lshl_or_b32 v19, v18, 12, v9
	v_mul_f64 v[11:12], v[11:12], s[4:5]
	v_cndmask_b32_e64 v15, v19, v15, s0
	v_lshrrev_b32_e32 v19, v17, v21
	s_mul_i32 s0, s8, 0x69
	s_lshl_b64 s[6:7], s[0:1], 2
	v_and_b32_e32 v22, 7, v15
	v_lshlrev_b32_e32 v14, v17, v19
	v_lshrrev_b32_e32 v15, 2, v15
	v_add_nc_u32_e32 v17, 0xfffffc10, v20
	v_cmp_lt_i32_e64 s0, 5, v22
	v_cmp_eq_u32_e64 s1, 3, v22
	v_cmp_ne_u32_e64 s2, v14, v21
	v_cvt_f64_f32_e32 v[13:14], v13
	s_or_b32 s0, s1, s0
	v_cndmask_b32_e64 v16, 0, 1, s2
	v_add_co_ci_u32_e64 v20, s0, 0, v15, s0
	v_cmp_ne_u32_e64 s0, 0, v9
	v_and_or_b32 v11, 0x1ff, v12, v11
	v_or_b32_e32 v15, v19, v16
	v_lshl_or_b32 v16, v17, 12, v5
	v_lshrrev_b32_e32 v21, 8, v12
	v_cndmask_b32_e64 v9, 0, 1, s0
	v_cmp_gt_i32_e64 s0, 1, v17
	v_bfe_u32 v22, v12, 20, 11
	v_lshl_or_b32 v9, v9, 9, 0x7c00
	v_cndmask_b32_e64 v19, v16, v15, s0
	v_cmp_ne_u32_e64 s0, 0, v11
	ds_read2_b32 v[15:16], v4 offset0:36 offset1:141
	v_mul_f64 v[13:14], v[13:14], s[4:5]
	v_and_b32_e32 v23, 7, v19
	v_cndmask_b32_e64 v11, 0, 1, s0
	v_cmp_gt_i32_e64 s0, 31, v18
	v_cmp_eq_u32_e64 s1, 3, v23
	v_and_or_b32 v11, 0xffe, v21, v11
	v_cndmask_b32_e64 v20, 0x7c00, v20, s0
	v_cmp_eq_u32_e64 s0, 0x40f, v18
	v_sub_nc_u32_e32 v21, 0x3f1, v22
	v_or_b32_e32 v18, 0x1000, v11
	v_cndmask_b32_e64 v9, v20, v9, s0
	v_cmp_lt_i32_e64 s0, 5, v23
	v_med3_i32 v20, v21, 0, 13
	v_and_or_b32 v21, 0x8000, v10, v9
	v_lshrrev_b32_e32 v9, 2, v19
	s_or_b32 s0, s1, s0
	s_waitcnt lgkmcnt(0)
	v_lshrrev_b32_e32 v19, 16, v15
	v_lshrrev_b32_e32 v23, v20, v18
	v_bfe_u32 v25, v14, 20, 11
	v_add_co_ci_u32_e64 v9, s0, 0, v9, s0
	v_cmp_ne_u32_e64 s0, 0, v5
	v_mul_f16_sdwa v10, v86, v19 dst_sel:DWORD dst_unused:UNUSED_PAD src0_sel:WORD_1 src1_sel:DWORD
	v_lshlrev_b32_e32 v20, v20, v23
	v_and_b32_e32 v21, 0xffff, v21
	v_cndmask_b32_e64 v5, 0, 1, s0
	v_cmp_gt_i32_e64 s0, 31, v17
	v_fmac_f16_e32 v10, v86, v15
	v_mul_f16_sdwa v15, v86, v15 dst_sel:DWORD dst_unused:UNUSED_PAD src0_sel:WORD_1 src1_sel:DWORD
	v_lshl_or_b32 v5, v5, 9, 0x7c00
	v_cndmask_b32_e64 v24, 0x7c00, v9, s0
	v_and_or_b32 v9, 0x1ff, v14, v13
	v_cmp_ne_u32_e64 s0, v20, v18
	v_cvt_f32_f16_e32 v10, v10
	v_add_nc_u32_e32 v18, 0xfffffc10, v22
	v_lshrrev_b32_e32 v22, 8, v14
	v_lshrrev_b32_e32 v14, 16, v14
	v_cndmask_b32_e64 v13, 0, 1, s0
	v_cmp_ne_u32_e64 s0, 0, v9
	v_cvt_f64_f32_e32 v[9:10], v10
	v_cndmask_b32_e64 v20, 0, 1, s0
	v_cmp_eq_u32_e64 s0, 0x40f, v17
	v_and_or_b32 v20, 0xffe, v22, v20
	v_sub_nc_u32_e32 v22, 0x3f1, v25
	v_cndmask_b32_e64 v17, v24, v5, s0
	v_or_b32_e32 v5, v23, v13
	v_lshrrev_b32_e32 v23, 16, v6
	v_or_b32_e32 v24, 0x1000, v20
	v_med3_i32 v22, v22, 0, 13
	v_lshl_or_b32 v13, v18, 12, v11
	v_cmp_gt_i32_e64 s0, 1, v18
	v_and_or_b32 v17, 0x8000, v23, v17
	v_lshrrev_b32_e32 v23, v22, v24
	v_cndmask_b32_e64 v13, v13, v5, s0
	v_add_co_u32 v5, s0, v7, s6
	v_add_co_ci_u32_e64 v6, s0, s7, v8, s0
	v_mul_f64 v[7:8], v[9:10], s[4:5]
	v_lshlrev_b32_e32 v9, v22, v23
	v_and_b32_e32 v26, 7, v13
	global_store_dword v[5:6], v1, off
	v_fma_f16 v1, v86, v19, -v15
	v_lshrrev_b32_e32 v13, 2, v13
	v_cmp_ne_u32_e64 s1, v9, v24
	v_cmp_lt_i32_e64 s0, 5, v26
	v_add_nc_u32_e32 v15, 0xfffffc10, v25
	v_cvt_f32_f16_e32 v1, v1
	v_lshl_or_b32 v17, v17, 16, v21
	v_cndmask_b32_e64 v9, 0, 1, s1
	v_cmp_eq_u32_e64 s1, 3, v26
	v_lshl_or_b32 v21, v15, 12, v20
	v_or_b32_e32 v19, v23, v9
	s_or_b32 s0, s1, s0
	v_cvt_f64_f32_e32 v[9:10], v1
	v_add_co_ci_u32_e64 v1, s0, 0, v13, s0
	v_cmp_ne_u32_e64 s0, 0, v11
	v_and_or_b32 v7, 0x1ff, v8, v7
	v_bfe_u32 v22, v8, 20, 11
	v_cndmask_b32_e64 v11, 0, 1, s0
	v_cmp_gt_i32_e64 s0, 1, v15
	v_lshl_or_b32 v11, v11, 9, 0x7c00
	v_cndmask_b32_e64 v13, v21, v19, s0
	v_cmp_gt_i32_e64 s0, 31, v18
	v_lshrrev_b32_e32 v21, 8, v8
	v_and_b32_e32 v19, 7, v13
	v_cndmask_b32_e64 v1, 0x7c00, v1, s0
	v_cmp_ne_u32_e64 s0, 0, v7
	v_mul_f64 v[9:10], v[9:10], s[4:5]
	v_lshrrev_b32_e32 v13, 2, v13
	v_cmp_eq_u32_e64 s1, 3, v19
	v_cndmask_b32_e64 v7, 0, 1, s0
	v_cmp_eq_u32_e64 s0, 0x40f, v18
	v_and_or_b32 v7, 0xffe, v21, v7
	v_cndmask_b32_e64 v1, v1, v11, s0
	v_cmp_lt_i32_e64 s0, 5, v19
	v_lshrrev_b32_e32 v11, 16, v12
	v_sub_nc_u32_e32 v12, 0x3f1, v22
	v_or_b32_e32 v18, 0x1000, v7
	v_lshrrev_b32_e32 v19, 16, v16
	s_or_b32 s0, s1, s0
	v_and_or_b32 v1, 0x8000, v11, v1
	v_add_co_ci_u32_e64 v13, s0, 0, v13, s0
	v_med3_i32 v12, v12, 0, 13
	v_cmp_ne_u32_e64 s0, 0, v20
	v_mul_f16_sdwa v23, v85, v19 dst_sel:DWORD dst_unused:UNUSED_PAD src0_sel:WORD_1 src1_sel:DWORD
	v_and_or_b32 v9, 0x1ff, v10, v9
	v_and_b32_e32 v1, 0xffff, v1
	v_lshrrev_b32_e32 v21, v12, v18
	v_cndmask_b32_e64 v20, 0, 1, s0
	v_cmp_gt_i32_e64 s0, 31, v15
	v_fmac_f16_e32 v23, v85, v16
	v_mul_f16_sdwa v16, v85, v16 dst_sel:DWORD dst_unused:UNUSED_PAD src0_sel:WORD_1 src1_sel:DWORD
	v_lshlrev_b32_e32 v11, v12, v21
	v_lshl_or_b32 v20, v20, 9, 0x7c00
	v_cndmask_b32_e64 v13, 0x7c00, v13, s0
	v_cmp_eq_u32_e64 s0, 0x40f, v15
	v_cvt_f32_f16_e32 v12, v23
	v_cndmask_b32_e64 v13, v13, v20, s0
	v_cmp_ne_u32_e64 s0, v11, v18
	v_cvt_f64_f32_e32 v[11:12], v12
	v_add_nc_u32_e32 v18, 0xfffffc10, v22
	v_lshrrev_b32_e32 v20, 8, v10
	v_bfe_u32 v22, v10, 20, 11
	v_cndmask_b32_e64 v15, 0, 1, s0
	v_cmp_ne_u32_e64 s0, 0, v9
	v_and_or_b32 v13, 0x8000, v14, v13
	v_or_b32_e32 v14, v21, v15
	v_cndmask_b32_e64 v9, 0, 1, s0
	v_lshl_or_b32 v15, v18, 12, v7
	v_cmp_gt_i32_e64 s0, 1, v18
	v_lshl_or_b32 v23, v13, 16, v1
	v_and_or_b32 v9, 0xffe, v20, v9
	v_sub_nc_u32_e32 v20, 0x3f1, v22
	v_cndmask_b32_e64 v15, v15, v14, s0
	v_add_co_u32 v5, s0, v5, s6
	v_or_b32_e32 v21, 0x1000, v9
	v_med3_i32 v20, v20, 0, 13
	v_add_co_ci_u32_e64 v6, s0, s7, v6, s0
	v_and_b32_e32 v1, 7, v15
	v_mul_f64 v[11:12], v[11:12], s[4:5]
	v_lshrrev_b32_e32 v24, v20, v21
	v_add_co_u32 v13, s0, v5, s6
	v_add_co_ci_u32_e64 v14, s0, s7, v6, s0
	v_lshlrev_b32_e32 v20, v20, v24
	v_cmp_lt_i32_e64 s0, 5, v1
	v_cmp_eq_u32_e64 s1, 3, v1
	v_fma_f16 v1, v85, v19, -v16
	v_lshrrev_b32_e32 v15, 2, v15
	v_cmp_ne_u32_e64 s2, v20, v21
	v_add_nc_u32_e32 v19, 0xfffffc10, v22
	s_or_b32 s0, s1, s0
	v_cvt_f32_f16_e32 v1, v1
	v_add_co_ci_u32_e64 v20, s0, 0, v15, s0
	v_cndmask_b32_e64 v16, 0, 1, s2
	v_cmp_ne_u32_e64 s0, 0, v7
	v_lshl_or_b32 v22, v19, 12, v9
	v_or_b32_e32 v21, v24, v16
	v_cvt_f64_f32_e32 v[15:16], v1
	v_cndmask_b32_e64 v7, 0, 1, s0
	v_cmp_gt_i32_e64 s0, 1, v19
	v_and_or_b32 v11, 0x1ff, v12, v11
	ds_read2_b32 v[0:1], v0 offset0:118 offset1:223
	v_lshrrev_b32_e32 v24, 8, v12
	v_lshl_or_b32 v7, v7, 9, 0x7c00
	v_cndmask_b32_e64 v21, v22, v21, s0
	v_cmp_gt_i32_e64 s0, 31, v18
	v_bfe_u32 v25, v12, 20, 11
	global_store_dword v[5:6], v17, off
	global_store_dword v[13:14], v23, off
	v_lshrrev_b32_e32 v12, 16, v12
	v_and_b32_e32 v22, 7, v21
	v_cndmask_b32_e64 v20, 0x7c00, v20, s0
	v_cmp_ne_u32_e64 s0, 0, v11
	v_cmp_eq_u32_e64 s1, 3, v22
	v_cndmask_b32_e64 v11, 0, 1, s0
	v_cmp_eq_u32_e64 s0, 0x40f, v18
	v_and_or_b32 v11, 0xffe, v24, v11
	v_cndmask_b32_e64 v18, v20, v7, s0
	v_cmp_lt_i32_e64 s0, 5, v22
	v_lshrrev_b32_e32 v20, 16, v8
	v_mul_f64 v[7:8], v[15:16], s[4:5]
	v_lshrrev_b32_e32 v16, 2, v21
	v_sub_nc_u32_e32 v24, 0x3f1, v25
	s_or_b32 s0, s1, s0
	v_or_b32_e32 v21, 0x1000, v11
	s_waitcnt lgkmcnt(0)
	v_lshrrev_b32_e32 v15, 16, v0
	v_add_co_ci_u32_e64 v16, s0, 0, v16, s0
	v_med3_i32 v22, v24, 0, 13
	v_cmp_ne_u32_e64 s0, 0, v9
	v_mul_f16_sdwa v24, v84, v15 dst_sel:DWORD dst_unused:UNUSED_PAD src0_sel:WORD_1 src1_sel:DWORD
	v_and_or_b32 v18, 0x8000, v20, v18
	v_lshrrev_b32_e32 v26, v22, v21
	v_cndmask_b32_e64 v9, 0, 1, s0
	v_cmp_gt_i32_e64 s0, 31, v19
	v_fmac_f16_e32 v24, v84, v0
	v_and_b32_e32 v18, 0xffff, v18
	v_lshlrev_b32_e32 v20, v22, v26
	v_lshl_or_b32 v9, v9, 9, 0x7c00
	v_cndmask_b32_e64 v16, 0x7c00, v16, s0
	v_cmp_eq_u32_e64 s0, 0x40f, v19
	v_and_or_b32 v7, 0x1ff, v8, v7
	v_cvt_f32_f16_e32 v22, v24
	v_lshrrev_b32_e32 v19, 16, v10
	v_bfe_u32 v24, v8, 20, 11
	v_cndmask_b32_e64 v16, v16, v9, s0
	v_cmp_ne_u32_e64 s0, v20, v21
	v_cvt_f64_f32_e32 v[9:10], v22
	v_add_nc_u32_e32 v21, 0xfffffc10, v25
	v_lshrrev_b32_e32 v22, 8, v8
	v_and_or_b32 v16, 0x8000, v19, v16
	v_cndmask_b32_e64 v20, 0, 1, s0
	v_cmp_ne_u32_e64 s0, 0, v7
	v_mul_f16_sdwa v0, v84, v0 dst_sel:DWORD dst_unused:UNUSED_PAD src0_sel:WORD_1 src1_sel:DWORD
	v_lshl_or_b32 v16, v16, 16, v18
	v_or_b32_e32 v19, v26, v20
	v_cndmask_b32_e64 v7, 0, 1, s0
	v_lshl_or_b32 v20, v21, 12, v11
	v_cmp_gt_i32_e64 s0, 1, v21
	v_fma_f16 v0, v84, v15, -v0
	v_add_nc_u32_e32 v15, 0xfffffc10, v24
	v_and_or_b32 v7, 0xffe, v22, v7
	v_sub_nc_u32_e32 v22, 0x3f1, v24
	v_cndmask_b32_e64 v19, v20, v19, s0
	v_cvt_f32_f16_e32 v0, v0
	v_or_b32_e32 v20, 0x1000, v7
	v_med3_i32 v22, v22, 0, 13
	v_and_b32_e32 v17, 7, v19
	v_mul_f64 v[5:6], v[9:10], s[4:5]
	v_add_co_u32 v9, s0, v13, s6
	v_lshrrev_b32_e32 v18, v22, v20
	v_add_co_ci_u32_e64 v10, s0, s7, v14, s0
	v_cmp_lt_i32_e64 s0, 5, v17
	v_cmp_eq_u32_e64 s1, 3, v17
	v_lshlrev_b32_e32 v13, v22, v18
	v_lshrrev_b32_e32 v14, 2, v19
	v_lshl_or_b32 v19, v15, 12, v7
	global_store_dword v[9:10], v16, off
	s_or_b32 s0, s1, s0
	v_cmp_ne_u32_e64 s2, v13, v20
	v_add_co_ci_u32_e64 v17, s0, 0, v14, s0
	v_cmp_ne_u32_e64 s0, 0, v11
	v_cndmask_b32_e64 v13, 0, 1, s2
	v_cndmask_b32_e64 v11, 0, 1, s0
	v_cmp_gt_i32_e64 s0, 1, v15
	v_or_b32_e32 v18, v18, v13
	v_cvt_f64_f32_e32 v[13:14], v0
	v_and_or_b32 v5, 0x1ff, v6, v5
	v_lshl_or_b32 v11, v11, 9, 0x7c00
	v_bfe_u32 v20, v6, 20, 11
	v_cndmask_b32_e64 v0, v19, v18, s0
	v_cmp_gt_i32_e64 s0, 31, v21
	v_lshrrev_b32_e32 v19, 8, v6
	v_and_b32_e32 v18, 7, v0
	v_cndmask_b32_e64 v17, 0x7c00, v17, s0
	v_cmp_ne_u32_e64 s0, 0, v5
	v_lshrrev_b32_e32 v0, 2, v0
	v_cmp_eq_u32_e64 s1, 3, v18
	v_cndmask_b32_e64 v5, 0, 1, s0
	v_cmp_eq_u32_e64 s0, 0x40f, v21
	v_and_or_b32 v5, 0xffe, v19, v5
	v_cndmask_b32_e64 v11, v17, v11, s0
	v_cmp_lt_i32_e64 s0, 5, v18
	v_lshrrev_b32_e32 v18, 16, v1
	v_mul_f64 v[13:14], v[13:14], s[4:5]
	v_sub_nc_u32_e32 v17, 0x3f1, v20
	v_or_b32_e32 v19, 0x1000, v5
	s_or_b32 s0, s1, s0
	v_mul_f16_sdwa v21, v83, v18 dst_sel:DWORD dst_unused:UNUSED_PAD src0_sel:WORD_1 src1_sel:DWORD
	v_add_co_ci_u32_e64 v0, s0, 0, v0, s0
	v_cmp_ne_u32_e64 s0, 0, v7
	v_med3_i32 v17, v17, 0, 13
	v_fmac_f16_e32 v21, v83, v1
	v_and_or_b32 v11, 0x8000, v12, v11
	v_mul_f16_sdwa v1, v83, v1 dst_sel:DWORD dst_unused:UNUSED_PAD src0_sel:WORD_1 src1_sel:DWORD
	v_cndmask_b32_e64 v7, 0, 1, s0
	v_cmp_gt_i32_e64 s0, 31, v15
	v_lshrrev_b32_e32 v22, v17, v19
	v_cvt_f32_f16_e32 v21, v21
	v_and_b32_e32 v11, 0xffff, v11
	v_lshl_or_b32 v7, v7, 9, 0x7c00
	v_cndmask_b32_e64 v0, 0x7c00, v0, s0
	v_cmp_eq_u32_e64 s0, 0x40f, v15
	v_lshlrev_b32_e32 v17, v17, v22
	v_lshrrev_b32_e32 v15, 16, v8
	v_and_or_b32 v13, 0x1ff, v14, v13
	v_cndmask_b32_e64 v0, v0, v7, s0
	v_cvt_f64_f32_e32 v[7:8], v21
	v_cmp_ne_u32_e64 s0, v17, v19
	v_add_nc_u32_e32 v19, 0xfffffc10, v20
	v_bfe_u32 v20, v14, 20, 11
	v_and_or_b32 v0, 0x8000, v15, v0
	v_cndmask_b32_e64 v17, 0, 1, s0
	v_cmp_ne_u32_e64 s0, 0, v13
	v_lshl_or_b32 v15, v19, 12, v5
	v_lshl_or_b32 v0, v0, 16, v11
	v_or_b32_e32 v12, v22, v17
	v_cndmask_b32_e64 v13, 0, 1, s0
	v_lshrrev_b32_e32 v17, 8, v14
	v_cmp_gt_i32_e64 s0, 1, v19
	v_lshrrev_b32_e32 v14, 16, v14
	v_and_or_b32 v13, 0xffe, v17, v13
	v_cndmask_b32_e64 v12, v15, v12, s0
	v_sub_nc_u32_e32 v15, 0x3f1, v20
	v_add_co_u32 v9, s0, v9, s6
	v_mul_f64 v[7:8], v[7:8], s[4:5]
	v_or_b32_e32 v16, 0x1000, v13
	v_med3_i32 v15, v15, 0, 13
	v_and_b32_e32 v11, 7, v12
	v_add_co_ci_u32_e64 v10, s0, s7, v10, s0
	v_lshrrev_b32_e32 v17, v15, v16
	v_cmp_lt_i32_e64 s0, 5, v11
	v_cmp_eq_u32_e64 s1, 3, v11
	global_store_dword v[9:10], v0, off
	v_lshrrev_b32_e32 v0, 2, v12
	v_lshlrev_b32_e32 v11, v15, v17
	v_fma_f16 v12, v83, v18, -v1
	s_or_b32 s0, s1, s0
	v_add_nc_u32_e32 v18, 0xfffffc10, v20
	v_add_co_ci_u32_e64 v15, s0, 0, v0, s0
	v_cmp_ne_u32_e64 s0, v11, v16
	ds_read2_b32 v[0:1], v2 offset0:72 offset1:177
	v_cvt_f32_f16_e32 v11, v12
	v_and_or_b32 v7, 0x1ff, v8, v7
	v_cndmask_b32_e64 v16, 0, 1, s0
	v_cmp_gt_i32_e64 s0, 31, v19
	v_cvt_f64_f32_e32 v[11:12], v11
	v_lshrrev_b32_e32 v20, 8, v8
	v_bfe_u32 v21, v8, 20, 11
	v_or_b32_e32 v16, v17, v16
	v_cndmask_b32_e64 v15, 0x7c00, v15, s0
	v_cmp_ne_u32_e64 s0, 0, v7
	v_lshl_or_b32 v17, v18, 12, v13
	v_cndmask_b32_e64 v7, 0, 1, s0
	v_cmp_ne_u32_e64 s0, 0, v5
	v_and_or_b32 v7, 0xffe, v20, v7
	v_cndmask_b32_e64 v5, 0, 1, s0
	v_cmp_gt_i32_e64 s0, 1, v18
	s_waitcnt lgkmcnt(0)
	v_lshrrev_b32_e32 v20, 16, v0
	v_or_b32_e32 v23, 0x1000, v7
	v_lshl_or_b32 v5, v5, 9, 0x7c00
	v_cndmask_b32_e64 v16, v17, v16, s0
	v_sub_nc_u32_e32 v17, 0x3f1, v21
	v_cmp_eq_u32_e64 s0, 0x40f, v19
	v_mul_f16_sdwa v24, v82, v20 dst_sel:DWORD dst_unused:UNUSED_PAD src0_sel:WORD_1 src1_sel:DWORD
	v_mul_f64 v[11:12], v[11:12], s[4:5]
	v_and_b32_e32 v22, 7, v16
	v_med3_i32 v17, v17, 0, 13
	v_cndmask_b32_e64 v15, v15, v5, s0
	v_lshrrev_b32_e32 v5, 2, v16
	v_fmac_f16_e32 v24, v82, v0
	v_cmp_lt_i32_e64 s0, 5, v22
	v_cmp_eq_u32_e64 s1, 3, v22
	v_lshrrev_b32_e32 v19, v17, v23
	v_lshrrev_b32_e32 v22, 16, v6
	v_cvt_f32_f16_e32 v6, v24
	v_add_nc_u32_e32 v21, 0xfffffc10, v21
	s_or_b32 s0, s1, s0
	v_lshlrev_b32_e32 v16, v17, v19
	v_add_co_ci_u32_e64 v17, s0, 0, v5, s0
	v_cmp_ne_u32_e64 s0, 0, v13
	v_cvt_f64_f32_e32 v[5:6], v6
	v_and_or_b32 v15, 0x8000, v22, v15
	v_mul_f16_sdwa v0, v82, v0 dst_sel:DWORD dst_unused:UNUSED_PAD src0_sel:WORD_1 src1_sel:DWORD
	v_lshrrev_b32_e32 v24, 16, v1
	v_cndmask_b32_e64 v13, 0, 1, s0
	v_cmp_ne_u32_e64 s0, v16, v23
	v_and_or_b32 v11, 0x1ff, v12, v11
	v_and_b32_e32 v15, 0xffff, v15
	v_fma_f16 v0, v82, v20, -v0
	v_lshl_or_b32 v13, v13, 9, 0x7c00
	v_cndmask_b32_e64 v16, 0, 1, s0
	v_cmp_gt_i32_e64 s0, 31, v18
	v_cvt_f32_f16_e32 v0, v0
	v_or_b32_e32 v16, v19, v16
	v_cndmask_b32_e64 v17, 0x7c00, v17, s0
	v_cmp_eq_u32_e64 s0, 0x40f, v18
	v_lshl_or_b32 v19, v21, 12, v7
	v_bfe_u32 v18, v12, 20, 11
	v_cndmask_b32_e64 v13, v17, v13, s0
	v_cmp_gt_i32_e64 s0, 1, v21
	v_lshrrev_b32_e32 v17, 8, v12
	v_mul_f64 v[5:6], v[5:6], s[4:5]
	v_and_or_b32 v13, 0x8000, v14, v13
	v_cndmask_b32_e64 v16, v19, v16, s0
	v_cmp_ne_u32_e64 s0, 0, v11
	v_lshl_or_b32 v15, v13, 16, v15
	v_and_b32_e32 v19, 7, v16
	v_cndmask_b32_e64 v11, 0, 1, s0
	v_lshrrev_b32_e32 v16, 2, v16
	v_cmp_lt_i32_e64 s0, 5, v19
	v_and_or_b32 v11, 0xffe, v17, v11
	v_sub_nc_u32_e32 v17, 0x3f1, v18
	v_cmp_eq_u32_e64 s1, 3, v19
	v_or_b32_e32 v14, 0x1000, v11
	v_med3_i32 v17, v17, 0, 13
	s_or_b32 s0, s1, s0
	v_and_or_b32 v5, 0x1ff, v6, v5
	v_add_co_ci_u32_e64 v16, s0, 0, v16, s0
	v_lshrrev_b32_e32 v19, v17, v14
	v_cmp_gt_i32_e64 s0, 31, v21
	v_bfe_u32 v20, v6, 20, 11
	v_lshlrev_b32_e32 v13, v17, v19
	v_cndmask_b32_e64 v16, 0x7c00, v16, s0
	v_cmp_ne_u32_e64 s0, v13, v14
	v_cvt_f64_f32_e32 v[13:14], v0
	v_add_nc_u32_e32 v0, 0xfffffc10, v18
	v_lshrrev_b32_e32 v18, 8, v6
	v_cndmask_b32_e64 v17, 0, 1, s0
	v_cmp_ne_u32_e64 s0, 0, v5
	v_or_b32_e32 v17, v19, v17
	v_cndmask_b32_e64 v5, 0, 1, s0
	v_cmp_ne_u32_e64 s0, 0, v7
	v_lshl_or_b32 v19, v0, 12, v11
	v_and_or_b32 v5, 0xffe, v18, v5
	v_cndmask_b32_e64 v7, 0, 1, s0
	v_cmp_gt_i32_e64 s0, 1, v0
	v_sub_nc_u32_e32 v18, 0x3f1, v20
	v_lshl_or_b32 v7, v7, 9, 0x7c00
	v_cndmask_b32_e64 v17, v19, v17, s0
	v_cmp_eq_u32_e64 s0, 0x40f, v21
	v_or_b32_e32 v19, 0x1000, v5
	v_med3_i32 v18, v18, 0, 13
	v_lshrrev_b32_e32 v21, 16, v8
	v_and_b32_e32 v22, 7, v17
	v_cndmask_b32_e64 v16, v16, v7, s0
	v_mul_f64 v[7:8], v[13:14], s[4:5]
	v_lshrrev_b32_e32 v23, v18, v19
	v_add_co_u32 v9, s0, v9, s6
	v_add_co_ci_u32_e64 v10, s0, s7, v10, s0
	v_lshlrev_b32_e32 v14, v18, v23
	v_mul_f16_sdwa v13, v81, v24 dst_sel:DWORD dst_unused:UNUSED_PAD src0_sel:WORD_1 src1_sel:DWORD
	v_cmp_lt_i32_e64 s0, 5, v22
	v_cmp_eq_u32_e64 s1, 3, v22
	v_lshrrev_b32_e32 v17, 2, v17
	v_cmp_ne_u32_e64 s2, v14, v19
	v_fmac_f16_e32 v13, v81, v1
	v_add_nc_u32_e32 v18, 0xfffffc10, v20
	s_or_b32 s0, s1, s0
	v_and_or_b32 v16, 0x8000, v21, v16
	v_add_co_ci_u32_e64 v17, s0, 0, v17, s0
	v_cndmask_b32_e64 v14, 0, 1, s2
	v_cmp_ne_u32_e64 s0, 0, v11
	v_cvt_f32_f16_e32 v13, v13
	v_lshl_or_b32 v20, v18, 12, v5
	v_and_or_b32 v7, 0x1ff, v8, v7
	v_or_b32_e32 v19, v23, v14
	v_cndmask_b32_e64 v11, 0, 1, s0
	v_cmp_gt_i32_e64 s0, 1, v18
	v_cvt_f64_f32_e32 v[13:14], v13
	v_bfe_u32 v21, v8, 20, 11
	v_and_b32_e32 v16, 0xffff, v16
	v_lshl_or_b32 v11, v11, 9, 0x7c00
	v_cndmask_b32_e64 v19, v20, v19, s0
	v_cmp_ne_u32_e64 s0, 0, v7
	v_lshrrev_b32_e32 v20, 8, v8
	v_mul_f16_sdwa v1, v81, v1 dst_sel:DWORD dst_unused:UNUSED_PAD src0_sel:WORD_1 src1_sel:DWORD
	v_and_b32_e32 v22, 7, v19
	v_cndmask_b32_e64 v7, 0, 1, s0
	v_cmp_gt_i32_e64 s0, 31, v0
	v_fma_f16 v1, v81, v24, -v1
	v_cmp_eq_u32_e64 s1, 3, v22
	v_and_or_b32 v7, 0xffe, v20, v7
	v_cndmask_b32_e64 v17, 0x7c00, v17, s0
	v_cmp_eq_u32_e64 s0, 0x40f, v0
	v_lshrrev_b32_e32 v20, 16, v12
	v_or_b32_e32 v23, 0x1000, v7
	v_cndmask_b32_e64 v0, v17, v11, s0
	v_sub_nc_u32_e32 v17, 0x3f1, v21
	v_cmp_lt_i32_e64 s0, 5, v22
	v_mul_f64 v[11:12], v[13:14], s[4:5]
	v_lshrrev_b32_e32 v14, 2, v19
	v_and_or_b32 v0, 0x8000, v20, v0
	v_med3_i32 v13, v17, 0, 13
	s_or_b32 s0, s1, s0
	ds_read_b32 v19, v79 offset:4200
	v_add_co_ci_u32_e64 v14, s0, 0, v14, s0
	v_lshrrev_b32_e32 v17, v13, v23
	v_cmp_ne_u32_e64 s0, 0, v5
	v_lshl_or_b32 v16, v0, 16, v16
	v_add_nc_u32_e32 v20, 0xfffffc10, v21
	v_lshrrev_b32_e32 v21, 16, v6
	v_lshlrev_b32_e32 v0, v13, v17
	v_cndmask_b32_e64 v5, 0, 1, s0
	v_cmp_gt_i32_e64 s0, 31, v18
	v_lshl_or_b32 v5, v5, 9, 0x7c00
	v_cndmask_b32_e64 v13, 0x7c00, v14, s0
	v_cmp_ne_u32_e64 s0, v0, v23
	v_and_or_b32 v11, 0x1ff, v12, v11
	v_lshl_or_b32 v14, v20, 12, v7
	v_cndmask_b32_e64 v0, 0, 1, s0
	v_cmp_eq_u32_e64 s0, 0x40f, v18
	v_bfe_u32 v18, v12, 20, 11
	v_cndmask_b32_e64 v13, v13, v5, s0
	v_cmp_ne_u32_e64 s0, 0, v11
	v_or_b32_e32 v5, v17, v0
	v_cvt_f32_f16_e32 v0, v1
	v_lshrrev_b32_e32 v17, 8, v12
	v_and_or_b32 v21, 0x8000, v21, v13
	v_cndmask_b32_e64 v11, 0, 1, s0
	v_cmp_gt_i32_e64 s0, 1, v20
	v_cvt_f64_f32_e32 v[0:1], v0
	v_lshrrev_b32_e32 v12, 16, v12
	v_and_or_b32 v11, 0xffe, v17, v11
	v_cndmask_b32_e64 v14, v14, v5, s0
	v_sub_nc_u32_e32 v5, 0x3f1, v18
	s_waitcnt lgkmcnt(0)
	v_lshrrev_b32_e32 v17, 16, v19
	v_add_nc_u32_e32 v18, 0xfffffc10, v18
	v_or_b32_e32 v23, 0x1000, v11
	v_and_b32_e32 v22, 7, v14
	v_med3_i32 v24, v5, 0, 13
	v_mul_f16_sdwa v25, v80, v17 dst_sel:DWORD dst_unused:UNUSED_PAD src0_sel:WORD_1 src1_sel:DWORD
	v_add_co_u32 v5, s0, v9, s6
	v_add_co_ci_u32_e64 v6, s0, s7, v10, s0
	v_lshrrev_b32_e32 v26, v24, v23
	v_fmac_f16_e32 v25, v80, v19
	v_cmp_lt_i32_e64 s0, 5, v22
	v_cmp_eq_u32_e64 s1, 3, v22
	v_lshrrev_b32_e32 v13, 2, v14
	v_lshlrev_b32_e32 v22, v24, v26
	v_cvt_f32_f16_e32 v14, v25
	v_mul_f64 v[0:1], v[0:1], s[4:5]
	s_or_b32 s0, s1, s0
	v_mul_f16_sdwa v19, v80, v19 dst_sel:DWORD dst_unused:UNUSED_PAD src0_sel:WORD_1 src1_sel:DWORD
	v_add_co_ci_u32_e64 v24, s0, 0, v13, s0
	v_cmp_ne_u32_e64 s0, v22, v23
	v_cvt_f64_f32_e32 v[13:14], v14
	v_lshl_or_b32 v23, v18, 12, v11
	v_fma_f16 v17, v80, v17, -v19
	v_cndmask_b32_e64 v22, 0, 1, s0
	v_cmp_ne_u32_e64 s0, 0, v7
	v_cvt_f32_f16_e32 v17, v17
	v_or_b32_e32 v22, v26, v22
	v_cndmask_b32_e64 v7, 0, 1, s0
	v_cmp_gt_i32_e64 s0, 31, v20
	v_lshl_or_b32 v7, v7, 9, 0x7c00
	v_cndmask_b32_e64 v19, 0x7c00, v24, s0
	v_cmp_gt_i32_e64 s0, 1, v18
	v_and_or_b32 v0, 0x1ff, v1, v0
	v_bfe_u32 v24, v1, 20, 11
	v_cndmask_b32_e64 v22, v23, v22, s0
	v_cmp_eq_u32_e64 s0, 0x40f, v20
	v_mul_f64 v[13:14], v[13:14], s[4:5]
	v_lshrrev_b32_e32 v20, 16, v8
	v_lshrrev_b32_e32 v23, 8, v1
	;; [unrolled: 1-line block ×3, first 2 shown]
	v_cndmask_b32_e64 v19, v19, v7, s0
	v_cvt_f64_f32_e32 v[7:8], v17
	v_cmp_ne_u32_e64 s0, 0, v0
	v_and_b32_e32 v17, 7, v22
	v_and_or_b32 v19, 0x8000, v20, v19
	v_and_b32_e32 v20, 0xffff, v21
	v_cndmask_b32_e64 v0, 0, 1, s0
	v_cmp_lt_i32_e64 s0, 5, v17
	v_cmp_eq_u32_e64 s1, 3, v17
	v_sub_nc_u32_e32 v21, 0x3f1, v24
	v_lshl_or_b32 v17, v19, 16, v20
	v_lshrrev_b32_e32 v19, 2, v22
	v_and_or_b32 v0, 0xffe, v23, v0
	s_or_b32 s0, s1, s0
	v_med3_i32 v21, v21, 0, 13
	v_add_co_ci_u32_e64 v19, s0, 0, v19, s0
	v_or_b32_e32 v20, 0x1000, v0
	v_cmp_ne_u32_e64 s0, 0, v11
	v_and_or_b32 v13, 0x1ff, v14, v13
	v_lshrrev_b32_e32 v23, 8, v14
	v_mul_f64 v[7:8], v[7:8], s[4:5]
	v_lshrrev_b32_e32 v22, v21, v20
	v_cndmask_b32_e64 v11, 0, 1, s0
	v_cmp_gt_i32_e64 s0, 31, v18
	v_bfe_u32 v25, v14, 20, 11
	v_lshrrev_b32_e32 v14, 16, v14
	v_lshlrev_b32_e32 v21, v21, v22
	v_lshl_or_b32 v11, v11, 9, 0x7c00
	v_cndmask_b32_e64 v19, 0x7c00, v19, s0
	v_cmp_ne_u32_e64 s0, 0, v13
	v_cndmask_b32_e64 v13, 0, 1, s0
	v_cmp_ne_u32_e64 s0, v21, v20
	v_add_nc_u32_e32 v21, 0xfffffc10, v24
	v_and_or_b32 v13, 0xffe, v23, v13
	v_cndmask_b32_e64 v20, 0, 1, s0
	v_sub_nc_u32_e32 v23, 0x3f1, v25
	v_cmp_eq_u32_e64 s0, 0x40f, v18
	v_and_or_b32 v7, 0x1ff, v8, v7
	v_bfe_u32 v24, v8, 20, 11
	v_or_b32_e32 v18, v22, v20
	v_or_b32_e32 v20, 0x1000, v13
	v_cndmask_b32_e64 v11, v19, v11, s0
	v_lshl_or_b32 v19, v21, 12, v0
	v_med3_i32 v22, v23, 0, 13
	v_cmp_gt_i32_e64 s0, 1, v21
	v_lshrrev_b32_e32 v23, 8, v8
	v_and_or_b32 v11, 0x8000, v12, v11
	v_sub_nc_u32_e32 v12, 0x3f1, v24
	v_cndmask_b32_e64 v18, v19, v18, s0
	v_lshrrev_b32_e32 v19, v22, v20
	v_cmp_ne_u32_e64 s0, 0, v7
	v_med3_i32 v12, v12, 0, 13
	v_and_b32_e32 v26, 7, v18
	v_lshlrev_b32_e32 v22, v22, v19
	v_cndmask_b32_e64 v7, 0, 1, s0
	v_lshrrev_b32_e32 v18, 2, v18
	v_cmp_lt_i32_e64 s0, 5, v26
	v_cmp_ne_u32_e64 s1, v22, v20
	v_and_or_b32 v7, 0xffe, v23, v7
	v_add_nc_u32_e32 v23, 0xfffffc10, v25
	v_cndmask_b32_e64 v20, 0, 1, s1
	v_cmp_eq_u32_e64 s1, 3, v26
	v_or_b32_e32 v22, 0x1000, v7
	v_lshl_or_b32 v25, v23, 12, v13
	v_or_b32_e32 v19, v19, v20
	s_or_b32 s0, s1, s0
	v_lshrrev_b32_e32 v20, v12, v22
	v_add_co_ci_u32_e64 v18, s0, 0, v18, s0
	v_cmp_gt_i32_e64 s0, 1, v23
	v_lshlrev_b32_e32 v12, v12, v20
	v_cndmask_b32_e64 v19, v25, v19, s0
	v_cmp_ne_u32_e64 s0, 0, v0
	v_cndmask_b32_e64 v0, 0, 1, s0
	v_cmp_ne_u32_e64 s0, v12, v22
	v_add_nc_u32_e32 v22, 0xfffffc10, v24
	v_and_b32_e32 v24, 7, v19
	v_lshl_or_b32 v0, v0, 9, 0x7c00
	v_cndmask_b32_e64 v12, 0, 1, s0
	v_cmp_gt_i32_e64 s0, 31, v21
	v_cmp_gt_i32_e64 s2, 1, v22
	v_cmp_eq_u32_e64 s1, 3, v24
	v_or_b32_e32 v12, v20, v12
	v_lshl_or_b32 v20, v22, 12, v7
	v_cndmask_b32_e64 v18, 0x7c00, v18, s0
	v_cmp_lt_i32_e64 s0, 5, v24
	v_cndmask_b32_e64 v12, v20, v12, s2
	v_cmp_eq_u32_e64 s2, 0x40f, v21
	s_or_b32 s0, s1, s0
	v_cndmask_b32_e64 v0, v18, v0, s2
	v_lshrrev_b32_e32 v18, 2, v19
	v_and_b32_e32 v19, 7, v12
	v_lshrrev_b32_e32 v12, 2, v12
	v_cmp_gt_i32_e64 s2, 31, v23
	v_and_or_b32 v0, 0x8000, v1, v0
	v_add_co_ci_u32_e64 v18, s0, 0, v18, s0
	v_cmp_ne_u32_e64 s0, 0, v13
	v_cmp_eq_u32_e64 s1, 3, v19
	v_and_b32_e32 v1, 0xffff, v11
	v_cndmask_b32_e64 v18, 0x7c00, v18, s2
	v_cndmask_b32_e64 v13, 0, 1, s0
	v_cmp_lt_i32_e64 s0, 5, v19
	v_lshl_or_b32 v13, v13, 9, 0x7c00
	s_or_b32 s0, s1, s0
	v_add_co_ci_u32_e64 v12, s0, 0, v12, s0
	v_cmp_ne_u32_e64 s0, 0, v7
	v_cndmask_b32_e64 v7, 0, 1, s0
	v_cmp_eq_u32_e64 s0, 0x40f, v23
	v_lshl_or_b32 v7, v7, 9, 0x7c00
	v_cndmask_b32_e64 v13, v18, v13, s0
	v_cmp_gt_i32_e64 s0, 31, v22
	v_and_or_b32 v11, 0x8000, v14, v13
	v_cndmask_b32_e64 v12, 0x7c00, v12, s0
	v_cmp_eq_u32_e64 s0, 0x40f, v22
	v_lshrrev_b32_e32 v13, 16, v8
	v_lshl_or_b32 v14, v0, 16, v1
	v_and_b32_e32 v1, 0xffff, v11
	v_cndmask_b32_e64 v12, v12, v7, s0
	v_add_co_u32 v7, s0, v5, s6
	v_add_co_ci_u32_e64 v8, s0, s7, v6, s0
	v_and_or_b32 v0, 0x8000, v13, v12
	v_add_co_u32 v11, s0, v7, s6
	v_add_co_ci_u32_e64 v12, s0, s7, v8, s0
	v_lshl_or_b32 v13, v0, 16, v1
	v_add_co_u32 v0, s0, v11, s6
	v_add_co_ci_u32_e64 v1, s0, s7, v12, s0
	global_store_dword v[9:10], v15, off
	global_store_dword v[5:6], v16, off
	;; [unrolled: 1-line block ×5, first 2 shown]
	s_and_b32 exec_lo, exec_lo, vcc_lo
	s_cbranch_execz .LBB0_23
; %bb.22:
	global_load_dword v7, v[32:33], off offset:220
	ds_read2_b32 v[5:6], v79 offset0:55 offset1:160
	v_mad_u64_u32 v[0:1], null, 0xfffff074, s8, v[0:1]
	s_waitcnt lgkmcnt(0)
	v_lshrrev_b32_e32 v8, 16, v5
	s_waitcnt vmcnt(0)
	v_mul_f16_sdwa v9, v8, v7 dst_sel:DWORD dst_unused:UNUSED_PAD src0_sel:DWORD src1_sel:WORD_1
	v_mul_f16_sdwa v10, v5, v7 dst_sel:DWORD dst_unused:UNUSED_PAD src0_sel:DWORD src1_sel:WORD_1
	v_fmac_f16_e32 v9, v5, v7
	v_fma_f16 v5, v7, v8, -v10
	v_cvt_f32_f16_e32 v7, v9
	v_cvt_f32_f16_e32 v5, v5
	v_cvt_f64_f32_e32 v[7:8], v7
	v_cvt_f64_f32_e32 v[9:10], v5
	v_mul_f64 v[7:8], v[7:8], s[4:5]
	v_mul_f64 v[9:10], v[9:10], s[4:5]
	v_and_or_b32 v5, 0x1ff, v8, v7
	v_and_or_b32 v9, 0x1ff, v10, v9
	v_lshrrev_b32_e32 v7, 8, v8
	v_bfe_u32 v11, v8, 20, 11
	v_lshrrev_b32_e32 v12, 8, v10
	v_cmp_ne_u32_e32 vcc_lo, 0, v5
	v_bfe_u32 v13, v10, 20, 11
	v_lshrrev_b32_e32 v8, 16, v8
	v_sub_nc_u32_e32 v14, 0x3f1, v11
	v_add_nc_u32_e32 v11, 0xfffffc10, v11
	v_cndmask_b32_e64 v5, 0, 1, vcc_lo
	v_cmp_ne_u32_e32 vcc_lo, 0, v9
	v_lshrrev_b32_e32 v10, 16, v10
	v_and_or_b32 v5, 0xffe, v7, v5
	v_cndmask_b32_e64 v9, 0, 1, vcc_lo
	v_sub_nc_u32_e32 v7, 0x3f1, v13
	v_add_nc_u32_e32 v13, 0xfffffc10, v13
	v_and_or_b32 v9, 0xffe, v12, v9
	v_med3_i32 v12, v14, 0, 13
	v_or_b32_e32 v14, 0x1000, v5
	v_med3_i32 v7, v7, 0, 13
	v_or_b32_e32 v15, 0x1000, v9
	v_lshrrev_b32_e32 v16, v12, v14
	v_lshrrev_b32_e32 v17, v7, v15
	v_lshlrev_b32_e32 v12, v12, v16
	v_lshlrev_b32_e32 v7, v7, v17
	v_cmp_ne_u32_e32 vcc_lo, v12, v14
	v_lshl_or_b32 v14, v11, 12, v5
	v_cndmask_b32_e64 v12, 0, 1, vcc_lo
	v_cmp_ne_u32_e32 vcc_lo, v7, v15
	v_lshl_or_b32 v15, v13, 12, v9
	v_or_b32_e32 v12, v16, v12
	v_cndmask_b32_e64 v7, 0, 1, vcc_lo
	v_cmp_gt_i32_e32 vcc_lo, 1, v11
	v_or_b32_e32 v7, v17, v7
	v_cndmask_b32_e32 v12, v14, v12, vcc_lo
	v_cmp_gt_i32_e32 vcc_lo, 1, v13
	v_and_b32_e32 v14, 7, v12
	v_cndmask_b32_e32 v7, v15, v7, vcc_lo
	v_cmp_ne_u32_e32 vcc_lo, 0, v5
	v_lshrrev_b32_e32 v12, 2, v12
	v_cmp_eq_u32_e64 s0, 3, v14
	v_and_b32_e32 v15, 7, v7
	v_cndmask_b32_e64 v5, 0, 1, vcc_lo
	v_cmp_ne_u32_e32 vcc_lo, 0, v9
	v_lshrrev_b32_e32 v7, 2, v7
	v_cmp_lt_i32_e64 s1, 5, v15
	v_cmp_eq_u32_e64 s2, 3, v15
	v_cndmask_b32_e64 v9, 0, 1, vcc_lo
	v_cmp_lt_i32_e32 vcc_lo, 5, v14
	v_lshl_or_b32 v5, v5, 9, 0x7c00
	v_lshl_or_b32 v9, v9, 9, 0x7c00
	s_or_b32 vcc_lo, s0, vcc_lo
	s_mul_i32 s0, s9, 0xfffff074
	v_add_co_ci_u32_e32 v12, vcc_lo, 0, v12, vcc_lo
	s_or_b32 vcc_lo, s2, s1
	s_sub_i32 s0, s0, s8
	v_add_co_ci_u32_e32 v7, vcc_lo, 0, v7, vcc_lo
	v_cmp_gt_i32_e32 vcc_lo, 31, v11
	v_add_nc_u32_e32 v1, s0, v1
	v_cndmask_b32_e32 v12, 0x7c00, v12, vcc_lo
	v_cmp_gt_i32_e32 vcc_lo, 31, v13
	v_cndmask_b32_e32 v7, 0x7c00, v7, vcc_lo
	v_cmp_eq_u32_e32 vcc_lo, 0x40f, v11
	v_cndmask_b32_e32 v5, v12, v5, vcc_lo
	v_cmp_eq_u32_e32 vcc_lo, 0x40f, v13
	v_and_or_b32 v5, 0x8000, v8, v5
	v_cndmask_b32_e32 v7, v7, v9, vcc_lo
	v_and_b32_e32 v5, 0xffff, v5
	v_and_or_b32 v7, 0x8000, v10, v7
	v_lshl_or_b32 v5, v7, 16, v5
	v_lshrrev_b32_e32 v7, 16, v6
	global_store_dword v[0:1], v5, off
	global_load_dword v5, v[32:33], off offset:640
	s_waitcnt vmcnt(0)
	v_mul_f16_sdwa v8, v7, v5 dst_sel:DWORD dst_unused:UNUSED_PAD src0_sel:DWORD src1_sel:WORD_1
	v_mul_f16_sdwa v9, v6, v5 dst_sel:DWORD dst_unused:UNUSED_PAD src0_sel:DWORD src1_sel:WORD_1
	v_fmac_f16_e32 v8, v6, v5
	v_fma_f16 v5, v5, v7, -v9
	v_cvt_f32_f16_e32 v6, v8
	v_cvt_f32_f16_e32 v7, v5
	v_cvt_f64_f32_e32 v[5:6], v6
	v_cvt_f64_f32_e32 v[7:8], v7
	v_mul_f64 v[5:6], v[5:6], s[4:5]
	v_mul_f64 v[7:8], v[7:8], s[4:5]
	v_and_or_b32 v5, 0x1ff, v6, v5
	v_and_or_b32 v7, 0x1ff, v8, v7
	v_lshrrev_b32_e32 v9, 8, v6
	v_bfe_u32 v10, v6, 20, 11
	v_lshrrev_b32_e32 v11, 8, v8
	v_cmp_ne_u32_e32 vcc_lo, 0, v5
	v_bfe_u32 v12, v8, 20, 11
	v_lshrrev_b32_e32 v6, 16, v6
	v_sub_nc_u32_e32 v13, 0x3f1, v10
	v_add_nc_u32_e32 v10, 0xfffffc10, v10
	v_cndmask_b32_e64 v5, 0, 1, vcc_lo
	v_cmp_ne_u32_e32 vcc_lo, 0, v7
	v_lshrrev_b32_e32 v8, 16, v8
	v_and_or_b32 v5, 0xffe, v9, v5
	v_cndmask_b32_e64 v7, 0, 1, vcc_lo
	v_sub_nc_u32_e32 v9, 0x3f1, v12
	v_add_nc_u32_e32 v12, 0xfffffc10, v12
	v_and_or_b32 v7, 0xffe, v11, v7
	v_med3_i32 v11, v13, 0, 13
	v_or_b32_e32 v13, 0x1000, v5
	v_med3_i32 v9, v9, 0, 13
	v_or_b32_e32 v14, 0x1000, v7
	v_lshrrev_b32_e32 v15, v11, v13
	v_lshrrev_b32_e32 v16, v9, v14
	v_lshlrev_b32_e32 v11, v11, v15
	v_lshlrev_b32_e32 v9, v9, v16
	v_cmp_ne_u32_e32 vcc_lo, v11, v13
	v_lshl_or_b32 v13, v10, 12, v5
	v_cndmask_b32_e64 v11, 0, 1, vcc_lo
	v_cmp_ne_u32_e32 vcc_lo, v9, v14
	v_lshl_or_b32 v14, v12, 12, v7
	v_or_b32_e32 v11, v15, v11
	v_cndmask_b32_e64 v9, 0, 1, vcc_lo
	v_cmp_gt_i32_e32 vcc_lo, 1, v10
	v_or_b32_e32 v9, v16, v9
	v_cndmask_b32_e32 v11, v13, v11, vcc_lo
	v_cmp_gt_i32_e32 vcc_lo, 1, v12
	v_and_b32_e32 v13, 7, v11
	v_cndmask_b32_e32 v9, v14, v9, vcc_lo
	v_cmp_ne_u32_e32 vcc_lo, 0, v5
	v_lshrrev_b32_e32 v11, 2, v11
	v_cmp_eq_u32_e64 s0, 3, v13
	v_and_b32_e32 v14, 7, v9
	v_cndmask_b32_e64 v5, 0, 1, vcc_lo
	v_cmp_ne_u32_e32 vcc_lo, 0, v7
	v_lshrrev_b32_e32 v9, 2, v9
	v_cmp_lt_i32_e64 s1, 5, v14
	v_cmp_eq_u32_e64 s2, 3, v14
	v_cndmask_b32_e64 v7, 0, 1, vcc_lo
	v_cmp_lt_i32_e32 vcc_lo, 5, v13
	v_lshl_or_b32 v5, v5, 9, 0x7c00
	v_lshl_or_b32 v7, v7, 9, 0x7c00
	s_or_b32 vcc_lo, s0, vcc_lo
	v_add_co_ci_u32_e32 v11, vcc_lo, 0, v11, vcc_lo
	s_or_b32 vcc_lo, s2, s1
	v_add_co_ci_u32_e32 v9, vcc_lo, 0, v9, vcc_lo
	v_cmp_gt_i32_e32 vcc_lo, 31, v10
	v_cndmask_b32_e32 v11, 0x7c00, v11, vcc_lo
	v_cmp_gt_i32_e32 vcc_lo, 31, v12
	v_cndmask_b32_e32 v9, 0x7c00, v9, vcc_lo
	v_cmp_eq_u32_e32 vcc_lo, 0x40f, v10
	v_cndmask_b32_e32 v5, v11, v5, vcc_lo
	v_cmp_eq_u32_e32 vcc_lo, 0x40f, v12
	v_and_or_b32 v5, 0x8000, v6, v5
	v_cndmask_b32_e32 v7, v9, v7, vcc_lo
	v_add_co_u32 v0, vcc_lo, v0, s6
	v_add_co_ci_u32_e32 v1, vcc_lo, s7, v1, vcc_lo
	v_and_or_b32 v6, 0x8000, v8, v7
	v_and_b32_e32 v5, 0xffff, v5
	v_lshl_or_b32 v5, v6, 16, v5
	global_store_dword v[0:1], v5, off
	global_load_dword v7, v[32:33], off offset:1060
	ds_read2_b32 v[5:6], v3 offset0:9 offset1:114
	s_waitcnt lgkmcnt(0)
	v_lshrrev_b32_e32 v3, 16, v5
	s_waitcnt vmcnt(0)
	v_mul_f16_sdwa v8, v3, v7 dst_sel:DWORD dst_unused:UNUSED_PAD src0_sel:DWORD src1_sel:WORD_1
	v_mul_f16_sdwa v9, v5, v7 dst_sel:DWORD dst_unused:UNUSED_PAD src0_sel:DWORD src1_sel:WORD_1
	v_fmac_f16_e32 v8, v5, v7
	v_fma_f16 v3, v7, v3, -v9
	v_cvt_f32_f16_e32 v5, v8
	v_cvt_f32_f16_e32 v3, v3
	v_cvt_f64_f32_e32 v[7:8], v5
	v_cvt_f64_f32_e32 v[9:10], v3
	v_mul_f64 v[7:8], v[7:8], s[4:5]
	v_mul_f64 v[9:10], v[9:10], s[4:5]
	v_and_or_b32 v3, 0x1ff, v8, v7
	v_and_or_b32 v9, 0x1ff, v10, v9
	v_lshrrev_b32_e32 v5, 8, v8
	v_bfe_u32 v7, v8, 20, 11
	v_lshrrev_b32_e32 v11, 8, v10
	v_cmp_ne_u32_e32 vcc_lo, 0, v3
	v_bfe_u32 v12, v10, 20, 11
	v_lshrrev_b32_e32 v8, 16, v8
	v_sub_nc_u32_e32 v13, 0x3f1, v7
	v_add_nc_u32_e32 v7, 0xfffffc10, v7
	v_cndmask_b32_e64 v3, 0, 1, vcc_lo
	v_cmp_ne_u32_e32 vcc_lo, 0, v9
	v_and_or_b32 v3, 0xffe, v5, v3
	v_cndmask_b32_e64 v9, 0, 1, vcc_lo
	v_sub_nc_u32_e32 v5, 0x3f1, v12
	v_add_nc_u32_e32 v12, 0xfffffc10, v12
	v_and_or_b32 v9, 0xffe, v11, v9
	v_med3_i32 v11, v13, 0, 13
	v_or_b32_e32 v13, 0x1000, v3
	v_med3_i32 v5, v5, 0, 13
	v_or_b32_e32 v14, 0x1000, v9
	v_lshrrev_b32_e32 v15, v11, v13
	v_lshrrev_b32_e32 v16, v5, v14
	v_lshlrev_b32_e32 v11, v11, v15
	v_lshlrev_b32_e32 v5, v5, v16
	v_cmp_ne_u32_e32 vcc_lo, v11, v13
	v_lshl_or_b32 v13, v7, 12, v3
	v_cndmask_b32_e64 v11, 0, 1, vcc_lo
	v_cmp_ne_u32_e32 vcc_lo, v5, v14
	v_lshl_or_b32 v14, v12, 12, v9
	v_or_b32_e32 v11, v15, v11
	v_cndmask_b32_e64 v5, 0, 1, vcc_lo
	v_cmp_gt_i32_e32 vcc_lo, 1, v7
	v_or_b32_e32 v5, v16, v5
	v_cndmask_b32_e32 v11, v13, v11, vcc_lo
	v_cmp_gt_i32_e32 vcc_lo, 1, v12
	v_and_b32_e32 v13, 7, v11
	v_cndmask_b32_e32 v5, v14, v5, vcc_lo
	v_cmp_ne_u32_e32 vcc_lo, 0, v3
	v_lshrrev_b32_e32 v11, 2, v11
	v_cmp_eq_u32_e64 s0, 3, v13
	v_and_b32_e32 v14, 7, v5
	v_cndmask_b32_e64 v3, 0, 1, vcc_lo
	v_cmp_ne_u32_e32 vcc_lo, 0, v9
	v_lshrrev_b32_e32 v5, 2, v5
	v_cmp_lt_i32_e64 s1, 5, v14
	v_cmp_eq_u32_e64 s2, 3, v14
	v_cndmask_b32_e64 v9, 0, 1, vcc_lo
	v_cmp_lt_i32_e32 vcc_lo, 5, v13
	v_lshl_or_b32 v3, v3, 9, 0x7c00
	v_lshl_or_b32 v9, v9, 9, 0x7c00
	s_or_b32 vcc_lo, s0, vcc_lo
	v_add_co_ci_u32_e32 v11, vcc_lo, 0, v11, vcc_lo
	s_or_b32 vcc_lo, s2, s1
	v_add_co_ci_u32_e32 v5, vcc_lo, 0, v5, vcc_lo
	v_cmp_gt_i32_e32 vcc_lo, 31, v7
	v_cndmask_b32_e32 v11, 0x7c00, v11, vcc_lo
	v_cmp_gt_i32_e32 vcc_lo, 31, v12
	v_cndmask_b32_e32 v5, 0x7c00, v5, vcc_lo
	v_cmp_eq_u32_e32 vcc_lo, 0x40f, v7
	v_lshrrev_b32_e32 v7, 16, v10
	v_cndmask_b32_e32 v3, v11, v3, vcc_lo
	v_cmp_eq_u32_e32 vcc_lo, 0x40f, v12
	v_and_or_b32 v3, 0x8000, v8, v3
	v_cndmask_b32_e32 v5, v5, v9, vcc_lo
	v_add_co_u32 v0, vcc_lo, v0, s6
	v_add_co_ci_u32_e32 v1, vcc_lo, s7, v1, vcc_lo
	v_and_or_b32 v5, 0x8000, v7, v5
	v_and_b32_e32 v3, 0xffff, v3
	v_lshl_or_b32 v3, v5, 16, v3
	v_lshrrev_b32_e32 v5, 16, v6
	global_store_dword v[0:1], v3, off
	global_load_dword v3, v[32:33], off offset:1480
	s_waitcnt vmcnt(0)
	v_mul_f16_sdwa v7, v5, v3 dst_sel:DWORD dst_unused:UNUSED_PAD src0_sel:DWORD src1_sel:WORD_1
	v_mul_f16_sdwa v8, v6, v3 dst_sel:DWORD dst_unused:UNUSED_PAD src0_sel:DWORD src1_sel:WORD_1
	v_fmac_f16_e32 v7, v6, v3
	v_fma_f16 v3, v3, v5, -v8
	v_cvt_f32_f16_e32 v5, v7
	v_cvt_f32_f16_e32 v3, v3
	v_cvt_f64_f32_e32 v[5:6], v5
	v_cvt_f64_f32_e32 v[7:8], v3
	v_mul_f64 v[5:6], v[5:6], s[4:5]
	v_mul_f64 v[7:8], v[7:8], s[4:5]
	v_and_or_b32 v3, 0x1ff, v6, v5
	v_and_or_b32 v7, 0x1ff, v8, v7
	v_lshrrev_b32_e32 v5, 8, v6
	v_bfe_u32 v9, v6, 20, 11
	v_lshrrev_b32_e32 v10, 8, v8
	v_cmp_ne_u32_e32 vcc_lo, 0, v3
	v_bfe_u32 v11, v8, 20, 11
	v_lshrrev_b32_e32 v6, 16, v6
	v_sub_nc_u32_e32 v12, 0x3f1, v9
	v_add_nc_u32_e32 v9, 0xfffffc10, v9
	v_cndmask_b32_e64 v3, 0, 1, vcc_lo
	v_cmp_ne_u32_e32 vcc_lo, 0, v7
	v_lshrrev_b32_e32 v8, 16, v8
	v_and_or_b32 v3, 0xffe, v5, v3
	v_cndmask_b32_e64 v7, 0, 1, vcc_lo
	v_sub_nc_u32_e32 v5, 0x3f1, v11
	v_add_nc_u32_e32 v11, 0xfffffc10, v11
	v_and_or_b32 v7, 0xffe, v10, v7
	v_med3_i32 v10, v12, 0, 13
	v_or_b32_e32 v12, 0x1000, v3
	v_med3_i32 v5, v5, 0, 13
	v_or_b32_e32 v13, 0x1000, v7
	v_lshrrev_b32_e32 v14, v10, v12
	v_lshrrev_b32_e32 v15, v5, v13
	v_lshlrev_b32_e32 v10, v10, v14
	v_lshlrev_b32_e32 v5, v5, v15
	v_cmp_ne_u32_e32 vcc_lo, v10, v12
	v_lshl_or_b32 v12, v9, 12, v3
	v_cndmask_b32_e64 v10, 0, 1, vcc_lo
	v_cmp_ne_u32_e32 vcc_lo, v5, v13
	v_lshl_or_b32 v13, v11, 12, v7
	v_or_b32_e32 v10, v14, v10
	v_cndmask_b32_e64 v5, 0, 1, vcc_lo
	v_cmp_gt_i32_e32 vcc_lo, 1, v9
	v_or_b32_e32 v5, v15, v5
	v_cndmask_b32_e32 v10, v12, v10, vcc_lo
	v_cmp_gt_i32_e32 vcc_lo, 1, v11
	v_and_b32_e32 v12, 7, v10
	v_cndmask_b32_e32 v5, v13, v5, vcc_lo
	v_cmp_ne_u32_e32 vcc_lo, 0, v3
	v_lshrrev_b32_e32 v10, 2, v10
	v_cmp_eq_u32_e64 s0, 3, v12
	v_and_b32_e32 v13, 7, v5
	v_cndmask_b32_e64 v3, 0, 1, vcc_lo
	v_cmp_ne_u32_e32 vcc_lo, 0, v7
	v_lshrrev_b32_e32 v5, 2, v5
	v_cmp_lt_i32_e64 s1, 5, v13
	v_cmp_eq_u32_e64 s2, 3, v13
	v_cndmask_b32_e64 v7, 0, 1, vcc_lo
	v_cmp_lt_i32_e32 vcc_lo, 5, v12
	v_lshl_or_b32 v3, v3, 9, 0x7c00
	v_lshl_or_b32 v7, v7, 9, 0x7c00
	s_or_b32 vcc_lo, s0, vcc_lo
	v_add_co_ci_u32_e32 v10, vcc_lo, 0, v10, vcc_lo
	s_or_b32 vcc_lo, s2, s1
	v_add_co_ci_u32_e32 v5, vcc_lo, 0, v5, vcc_lo
	v_cmp_gt_i32_e32 vcc_lo, 31, v9
	v_cndmask_b32_e32 v10, 0x7c00, v10, vcc_lo
	v_cmp_gt_i32_e32 vcc_lo, 31, v11
	v_cndmask_b32_e32 v5, 0x7c00, v5, vcc_lo
	v_cmp_eq_u32_e32 vcc_lo, 0x40f, v9
	v_cndmask_b32_e32 v3, v10, v3, vcc_lo
	v_cmp_eq_u32_e32 vcc_lo, 0x40f, v11
	v_and_or_b32 v3, 0x8000, v6, v3
	v_cndmask_b32_e32 v5, v5, v7, vcc_lo
	v_add_co_u32 v0, vcc_lo, v0, s6
	v_add_co_ci_u32_e32 v1, vcc_lo, s7, v1, vcc_lo
	v_and_or_b32 v5, 0x8000, v8, v5
	v_and_b32_e32 v3, 0xffff, v3
	v_lshl_or_b32 v3, v5, 16, v3
	global_store_dword v[0:1], v3, off
	global_load_dword v5, v[32:33], off offset:1900
	ds_read2_b32 v[3:4], v4 offset0:91 offset1:196
	s_waitcnt lgkmcnt(0)
	v_lshrrev_b32_e32 v6, 16, v3
	s_waitcnt vmcnt(0)
	v_mul_f16_sdwa v7, v6, v5 dst_sel:DWORD dst_unused:UNUSED_PAD src0_sel:DWORD src1_sel:WORD_1
	v_mul_f16_sdwa v8, v3, v5 dst_sel:DWORD dst_unused:UNUSED_PAD src0_sel:DWORD src1_sel:WORD_1
	v_fmac_f16_e32 v7, v3, v5
	v_fma_f16 v3, v5, v6, -v8
	v_cvt_f32_f16_e32 v5, v7
	v_cvt_f32_f16_e32 v3, v3
	v_cvt_f64_f32_e32 v[5:6], v5
	v_cvt_f64_f32_e32 v[7:8], v3
	v_mul_f64 v[5:6], v[5:6], s[4:5]
	v_mul_f64 v[7:8], v[7:8], s[4:5]
	v_and_or_b32 v3, 0x1ff, v6, v5
	v_and_or_b32 v7, 0x1ff, v8, v7
	v_lshrrev_b32_e32 v5, 8, v6
	v_bfe_u32 v9, v6, 20, 11
	v_lshrrev_b32_e32 v10, 8, v8
	v_cmp_ne_u32_e32 vcc_lo, 0, v3
	v_bfe_u32 v11, v8, 20, 11
	v_lshrrev_b32_e32 v6, 16, v6
	v_sub_nc_u32_e32 v12, 0x3f1, v9
	v_add_nc_u32_e32 v9, 0xfffffc10, v9
	v_cndmask_b32_e64 v3, 0, 1, vcc_lo
	v_cmp_ne_u32_e32 vcc_lo, 0, v7
	v_lshrrev_b32_e32 v8, 16, v8
	v_and_or_b32 v3, 0xffe, v5, v3
	v_cndmask_b32_e64 v7, 0, 1, vcc_lo
	v_sub_nc_u32_e32 v5, 0x3f1, v11
	v_add_nc_u32_e32 v11, 0xfffffc10, v11
	v_and_or_b32 v7, 0xffe, v10, v7
	v_med3_i32 v10, v12, 0, 13
	v_or_b32_e32 v12, 0x1000, v3
	v_med3_i32 v5, v5, 0, 13
	v_or_b32_e32 v13, 0x1000, v7
	v_lshrrev_b32_e32 v14, v10, v12
	v_lshrrev_b32_e32 v15, v5, v13
	v_lshlrev_b32_e32 v10, v10, v14
	v_lshlrev_b32_e32 v5, v5, v15
	v_cmp_ne_u32_e32 vcc_lo, v10, v12
	v_lshl_or_b32 v12, v9, 12, v3
	v_cndmask_b32_e64 v10, 0, 1, vcc_lo
	v_cmp_ne_u32_e32 vcc_lo, v5, v13
	v_lshl_or_b32 v13, v11, 12, v7
	v_or_b32_e32 v10, v14, v10
	v_cndmask_b32_e64 v5, 0, 1, vcc_lo
	v_cmp_gt_i32_e32 vcc_lo, 1, v9
	v_or_b32_e32 v5, v15, v5
	v_cndmask_b32_e32 v10, v12, v10, vcc_lo
	v_cmp_gt_i32_e32 vcc_lo, 1, v11
	v_and_b32_e32 v12, 7, v10
	v_cndmask_b32_e32 v5, v13, v5, vcc_lo
	v_cmp_ne_u32_e32 vcc_lo, 0, v3
	v_lshrrev_b32_e32 v10, 2, v10
	v_cmp_eq_u32_e64 s0, 3, v12
	v_and_b32_e32 v13, 7, v5
	v_cndmask_b32_e64 v3, 0, 1, vcc_lo
	v_cmp_ne_u32_e32 vcc_lo, 0, v7
	v_lshrrev_b32_e32 v5, 2, v5
	v_cmp_lt_i32_e64 s1, 5, v13
	v_cmp_eq_u32_e64 s2, 3, v13
	v_cndmask_b32_e64 v7, 0, 1, vcc_lo
	v_cmp_lt_i32_e32 vcc_lo, 5, v12
	v_lshl_or_b32 v3, v3, 9, 0x7c00
	v_lshl_or_b32 v7, v7, 9, 0x7c00
	s_or_b32 vcc_lo, s0, vcc_lo
	v_add_co_ci_u32_e32 v10, vcc_lo, 0, v10, vcc_lo
	s_or_b32 vcc_lo, s2, s1
	v_add_co_ci_u32_e32 v5, vcc_lo, 0, v5, vcc_lo
	v_cmp_gt_i32_e32 vcc_lo, 31, v9
	v_cndmask_b32_e32 v10, 0x7c00, v10, vcc_lo
	v_cmp_gt_i32_e32 vcc_lo, 31, v11
	v_cndmask_b32_e32 v5, 0x7c00, v5, vcc_lo
	v_cmp_eq_u32_e32 vcc_lo, 0x40f, v9
	v_cndmask_b32_e32 v3, v10, v3, vcc_lo
	v_cmp_eq_u32_e32 vcc_lo, 0x40f, v11
	v_and_or_b32 v3, 0x8000, v6, v3
	v_cndmask_b32_e32 v5, v5, v7, vcc_lo
	v_add_co_u32 v0, vcc_lo, v0, s6
	v_add_co_ci_u32_e32 v1, vcc_lo, s7, v1, vcc_lo
	v_and_or_b32 v5, 0x8000, v8, v5
	v_and_b32_e32 v3, 0xffff, v3
	v_lshl_or_b32 v3, v5, 16, v3
	v_lshrrev_b32_e32 v5, 16, v4
	global_store_dword v[0:1], v3, off
	global_load_dword v3, v[30:31], off offset:272
	s_waitcnt vmcnt(0)
	v_mul_f16_sdwa v6, v5, v3 dst_sel:DWORD dst_unused:UNUSED_PAD src0_sel:DWORD src1_sel:WORD_1
	v_mul_f16_sdwa v7, v4, v3 dst_sel:DWORD dst_unused:UNUSED_PAD src0_sel:DWORD src1_sel:WORD_1
	v_fmac_f16_e32 v6, v4, v3
	v_fma_f16 v3, v3, v5, -v7
	v_cvt_f32_f16_e32 v4, v6
	v_cvt_f32_f16_e32 v5, v3
	v_cvt_f64_f32_e32 v[3:4], v4
	v_cvt_f64_f32_e32 v[5:6], v5
	v_mul_f64 v[3:4], v[3:4], s[4:5]
	v_mul_f64 v[5:6], v[5:6], s[4:5]
	v_and_or_b32 v3, 0x1ff, v4, v3
	v_and_or_b32 v5, 0x1ff, v6, v5
	v_lshrrev_b32_e32 v7, 8, v4
	v_bfe_u32 v8, v4, 20, 11
	v_lshrrev_b32_e32 v9, 8, v6
	v_cmp_ne_u32_e32 vcc_lo, 0, v3
	v_bfe_u32 v10, v6, 20, 11
	v_lshrrev_b32_e32 v4, 16, v4
	v_sub_nc_u32_e32 v11, 0x3f1, v8
	v_add_nc_u32_e32 v8, 0xfffffc10, v8
	v_cndmask_b32_e64 v3, 0, 1, vcc_lo
	v_cmp_ne_u32_e32 vcc_lo, 0, v5
	v_lshrrev_b32_e32 v6, 16, v6
	v_and_or_b32 v3, 0xffe, v7, v3
	v_cndmask_b32_e64 v5, 0, 1, vcc_lo
	v_sub_nc_u32_e32 v7, 0x3f1, v10
	v_add_nc_u32_e32 v10, 0xfffffc10, v10
	v_and_or_b32 v5, 0xffe, v9, v5
	v_med3_i32 v9, v11, 0, 13
	v_or_b32_e32 v11, 0x1000, v3
	v_med3_i32 v7, v7, 0, 13
	v_or_b32_e32 v12, 0x1000, v5
	v_lshrrev_b32_e32 v13, v9, v11
	v_lshrrev_b32_e32 v14, v7, v12
	v_lshlrev_b32_e32 v9, v9, v13
	v_lshlrev_b32_e32 v7, v7, v14
	v_cmp_ne_u32_e32 vcc_lo, v9, v11
	v_lshl_or_b32 v11, v8, 12, v3
	v_cndmask_b32_e64 v9, 0, 1, vcc_lo
	v_cmp_ne_u32_e32 vcc_lo, v7, v12
	v_lshl_or_b32 v12, v10, 12, v5
	v_or_b32_e32 v9, v13, v9
	v_cndmask_b32_e64 v7, 0, 1, vcc_lo
	v_cmp_gt_i32_e32 vcc_lo, 1, v8
	v_or_b32_e32 v7, v14, v7
	v_cndmask_b32_e32 v9, v11, v9, vcc_lo
	v_cmp_gt_i32_e32 vcc_lo, 1, v10
	v_and_b32_e32 v11, 7, v9
	v_cndmask_b32_e32 v7, v12, v7, vcc_lo
	v_cmp_ne_u32_e32 vcc_lo, 0, v3
	v_lshrrev_b32_e32 v9, 2, v9
	v_cmp_eq_u32_e64 s0, 3, v11
	v_and_b32_e32 v12, 7, v7
	v_cndmask_b32_e64 v3, 0, 1, vcc_lo
	v_cmp_ne_u32_e32 vcc_lo, 0, v5
	v_lshrrev_b32_e32 v7, 2, v7
	v_cmp_lt_i32_e64 s1, 5, v12
	v_cmp_eq_u32_e64 s2, 3, v12
	v_cndmask_b32_e64 v5, 0, 1, vcc_lo
	v_cmp_lt_i32_e32 vcc_lo, 5, v11
	v_lshl_or_b32 v3, v3, 9, 0x7c00
	v_lshl_or_b32 v5, v5, 9, 0x7c00
	s_or_b32 vcc_lo, s0, vcc_lo
	v_add_co_ci_u32_e32 v9, vcc_lo, 0, v9, vcc_lo
	s_or_b32 vcc_lo, s2, s1
	v_add_co_ci_u32_e32 v7, vcc_lo, 0, v7, vcc_lo
	v_cmp_gt_i32_e32 vcc_lo, 31, v8
	v_cndmask_b32_e32 v9, 0x7c00, v9, vcc_lo
	v_cmp_gt_i32_e32 vcc_lo, 31, v10
	v_cndmask_b32_e32 v7, 0x7c00, v7, vcc_lo
	v_cmp_eq_u32_e32 vcc_lo, 0x40f, v8
	v_cndmask_b32_e32 v3, v9, v3, vcc_lo
	v_cmp_eq_u32_e32 vcc_lo, 0x40f, v10
	v_and_or_b32 v3, 0x8000, v4, v3
	v_cndmask_b32_e32 v5, v7, v5, vcc_lo
	v_add_co_u32 v0, vcc_lo, v0, s6
	v_add_co_ci_u32_e32 v1, vcc_lo, s7, v1, vcc_lo
	v_and_or_b32 v4, 0x8000, v6, v5
	v_and_b32_e32 v3, 0xffff, v3
	v_lshl_or_b32 v3, v4, 16, v3
	global_store_dword v[0:1], v3, off
	global_load_dword v5, v[30:31], off offset:692
	v_add_nc_u32_e32 v3, 0xa00, v79
	ds_read2_b32 v[3:4], v3 offset0:45 offset1:150
	s_waitcnt lgkmcnt(0)
	v_lshrrev_b32_e32 v6, 16, v3
	s_waitcnt vmcnt(0)
	v_mul_f16_sdwa v7, v6, v5 dst_sel:DWORD dst_unused:UNUSED_PAD src0_sel:DWORD src1_sel:WORD_1
	v_mul_f16_sdwa v8, v3, v5 dst_sel:DWORD dst_unused:UNUSED_PAD src0_sel:DWORD src1_sel:WORD_1
	v_fmac_f16_e32 v7, v3, v5
	v_fma_f16 v3, v5, v6, -v8
	v_cvt_f32_f16_e32 v5, v7
	v_cvt_f32_f16_e32 v3, v3
	v_cvt_f64_f32_e32 v[5:6], v5
	v_cvt_f64_f32_e32 v[7:8], v3
	v_mul_f64 v[5:6], v[5:6], s[4:5]
	v_mul_f64 v[7:8], v[7:8], s[4:5]
	v_and_or_b32 v3, 0x1ff, v6, v5
	v_and_or_b32 v7, 0x1ff, v8, v7
	v_lshrrev_b32_e32 v5, 8, v6
	v_bfe_u32 v9, v6, 20, 11
	v_lshrrev_b32_e32 v10, 8, v8
	v_cmp_ne_u32_e32 vcc_lo, 0, v3
	v_bfe_u32 v11, v8, 20, 11
	v_lshrrev_b32_e32 v6, 16, v6
	v_sub_nc_u32_e32 v12, 0x3f1, v9
	v_add_nc_u32_e32 v9, 0xfffffc10, v9
	v_cndmask_b32_e64 v3, 0, 1, vcc_lo
	v_cmp_ne_u32_e32 vcc_lo, 0, v7
	v_lshrrev_b32_e32 v8, 16, v8
	v_and_or_b32 v3, 0xffe, v5, v3
	v_cndmask_b32_e64 v7, 0, 1, vcc_lo
	v_sub_nc_u32_e32 v5, 0x3f1, v11
	v_add_nc_u32_e32 v11, 0xfffffc10, v11
	v_and_or_b32 v7, 0xffe, v10, v7
	v_med3_i32 v10, v12, 0, 13
	v_or_b32_e32 v12, 0x1000, v3
	v_med3_i32 v5, v5, 0, 13
	v_or_b32_e32 v13, 0x1000, v7
	v_lshrrev_b32_e32 v14, v10, v12
	v_lshrrev_b32_e32 v15, v5, v13
	v_lshlrev_b32_e32 v10, v10, v14
	v_lshlrev_b32_e32 v5, v5, v15
	v_cmp_ne_u32_e32 vcc_lo, v10, v12
	v_lshl_or_b32 v12, v9, 12, v3
	v_cndmask_b32_e64 v10, 0, 1, vcc_lo
	v_cmp_ne_u32_e32 vcc_lo, v5, v13
	v_lshl_or_b32 v13, v11, 12, v7
	v_or_b32_e32 v10, v14, v10
	v_cndmask_b32_e64 v5, 0, 1, vcc_lo
	v_cmp_gt_i32_e32 vcc_lo, 1, v9
	v_or_b32_e32 v5, v15, v5
	v_cndmask_b32_e32 v10, v12, v10, vcc_lo
	v_cmp_gt_i32_e32 vcc_lo, 1, v11
	v_and_b32_e32 v12, 7, v10
	v_cndmask_b32_e32 v5, v13, v5, vcc_lo
	v_cmp_ne_u32_e32 vcc_lo, 0, v3
	v_lshrrev_b32_e32 v10, 2, v10
	v_cmp_eq_u32_e64 s0, 3, v12
	v_and_b32_e32 v13, 7, v5
	v_cndmask_b32_e64 v3, 0, 1, vcc_lo
	v_cmp_ne_u32_e32 vcc_lo, 0, v7
	v_lshrrev_b32_e32 v5, 2, v5
	v_cmp_lt_i32_e64 s1, 5, v13
	v_cmp_eq_u32_e64 s2, 3, v13
	v_cndmask_b32_e64 v7, 0, 1, vcc_lo
	v_cmp_lt_i32_e32 vcc_lo, 5, v12
	v_lshl_or_b32 v3, v3, 9, 0x7c00
	v_lshl_or_b32 v7, v7, 9, 0x7c00
	s_or_b32 vcc_lo, s0, vcc_lo
	v_add_co_ci_u32_e32 v10, vcc_lo, 0, v10, vcc_lo
	s_or_b32 vcc_lo, s2, s1
	v_add_co_ci_u32_e32 v5, vcc_lo, 0, v5, vcc_lo
	v_cmp_gt_i32_e32 vcc_lo, 31, v9
	v_cndmask_b32_e32 v10, 0x7c00, v10, vcc_lo
	v_cmp_gt_i32_e32 vcc_lo, 31, v11
	v_cndmask_b32_e32 v5, 0x7c00, v5, vcc_lo
	v_cmp_eq_u32_e32 vcc_lo, 0x40f, v9
	v_cndmask_b32_e32 v3, v10, v3, vcc_lo
	v_cmp_eq_u32_e32 vcc_lo, 0x40f, v11
	v_and_or_b32 v3, 0x8000, v6, v3
	v_cndmask_b32_e32 v5, v5, v7, vcc_lo
	v_add_co_u32 v0, vcc_lo, v0, s6
	v_add_co_ci_u32_e32 v1, vcc_lo, s7, v1, vcc_lo
	v_and_or_b32 v5, 0x8000, v8, v5
	v_and_b32_e32 v3, 0xffff, v3
	v_lshl_or_b32 v3, v5, 16, v3
	v_lshrrev_b32_e32 v5, 16, v4
	global_store_dword v[0:1], v3, off
	global_load_dword v3, v[30:31], off offset:1112
	s_waitcnt vmcnt(0)
	v_mul_f16_sdwa v6, v5, v3 dst_sel:DWORD dst_unused:UNUSED_PAD src0_sel:DWORD src1_sel:WORD_1
	v_mul_f16_sdwa v7, v4, v3 dst_sel:DWORD dst_unused:UNUSED_PAD src0_sel:DWORD src1_sel:WORD_1
	v_fmac_f16_e32 v6, v4, v3
	v_fma_f16 v3, v3, v5, -v7
	v_cvt_f32_f16_e32 v4, v6
	v_cvt_f32_f16_e32 v5, v3
	v_cvt_f64_f32_e32 v[3:4], v4
	v_cvt_f64_f32_e32 v[5:6], v5
	v_mul_f64 v[3:4], v[3:4], s[4:5]
	v_mul_f64 v[5:6], v[5:6], s[4:5]
	v_and_or_b32 v3, 0x1ff, v4, v3
	v_and_or_b32 v5, 0x1ff, v6, v5
	v_lshrrev_b32_e32 v7, 8, v4
	v_bfe_u32 v8, v4, 20, 11
	v_lshrrev_b32_e32 v9, 8, v6
	v_cmp_ne_u32_e32 vcc_lo, 0, v3
	v_bfe_u32 v10, v6, 20, 11
	v_lshrrev_b32_e32 v4, 16, v4
	v_sub_nc_u32_e32 v11, 0x3f1, v8
	v_add_nc_u32_e32 v8, 0xfffffc10, v8
	v_cndmask_b32_e64 v3, 0, 1, vcc_lo
	v_cmp_ne_u32_e32 vcc_lo, 0, v5
	v_lshrrev_b32_e32 v6, 16, v6
	v_and_or_b32 v3, 0xffe, v7, v3
	v_cndmask_b32_e64 v5, 0, 1, vcc_lo
	v_sub_nc_u32_e32 v7, 0x3f1, v10
	v_add_nc_u32_e32 v10, 0xfffffc10, v10
	v_and_or_b32 v5, 0xffe, v9, v5
	v_med3_i32 v9, v11, 0, 13
	v_or_b32_e32 v11, 0x1000, v3
	v_med3_i32 v7, v7, 0, 13
	v_or_b32_e32 v12, 0x1000, v5
	v_lshrrev_b32_e32 v13, v9, v11
	v_lshrrev_b32_e32 v14, v7, v12
	v_lshlrev_b32_e32 v9, v9, v13
	v_lshlrev_b32_e32 v7, v7, v14
	v_cmp_ne_u32_e32 vcc_lo, v9, v11
	v_lshl_or_b32 v11, v8, 12, v3
	v_cndmask_b32_e64 v9, 0, 1, vcc_lo
	v_cmp_ne_u32_e32 vcc_lo, v7, v12
	v_lshl_or_b32 v12, v10, 12, v5
	v_or_b32_e32 v9, v13, v9
	v_cndmask_b32_e64 v7, 0, 1, vcc_lo
	v_cmp_gt_i32_e32 vcc_lo, 1, v8
	v_or_b32_e32 v7, v14, v7
	v_cndmask_b32_e32 v9, v11, v9, vcc_lo
	v_cmp_gt_i32_e32 vcc_lo, 1, v10
	v_and_b32_e32 v11, 7, v9
	v_cndmask_b32_e32 v7, v12, v7, vcc_lo
	v_cmp_ne_u32_e32 vcc_lo, 0, v3
	v_lshrrev_b32_e32 v9, 2, v9
	v_cmp_eq_u32_e64 s0, 3, v11
	v_and_b32_e32 v12, 7, v7
	v_cndmask_b32_e64 v3, 0, 1, vcc_lo
	v_cmp_ne_u32_e32 vcc_lo, 0, v5
	v_lshrrev_b32_e32 v7, 2, v7
	v_cmp_lt_i32_e64 s1, 5, v12
	v_cmp_eq_u32_e64 s2, 3, v12
	v_cndmask_b32_e64 v5, 0, 1, vcc_lo
	v_cmp_lt_i32_e32 vcc_lo, 5, v11
	v_lshl_or_b32 v3, v3, 9, 0x7c00
	v_lshl_or_b32 v5, v5, 9, 0x7c00
	s_or_b32 vcc_lo, s0, vcc_lo
	v_add_co_ci_u32_e32 v9, vcc_lo, 0, v9, vcc_lo
	s_or_b32 vcc_lo, s2, s1
	v_add_co_ci_u32_e32 v7, vcc_lo, 0, v7, vcc_lo
	v_cmp_gt_i32_e32 vcc_lo, 31, v8
	v_cndmask_b32_e32 v9, 0x7c00, v9, vcc_lo
	v_cmp_gt_i32_e32 vcc_lo, 31, v10
	v_cndmask_b32_e32 v7, 0x7c00, v7, vcc_lo
	v_cmp_eq_u32_e32 vcc_lo, 0x40f, v8
	v_cndmask_b32_e32 v3, v9, v3, vcc_lo
	v_cmp_eq_u32_e32 vcc_lo, 0x40f, v10
	v_and_or_b32 v3, 0x8000, v4, v3
	v_cndmask_b32_e32 v5, v7, v5, vcc_lo
	v_add_co_u32 v0, vcc_lo, v0, s6
	v_add_co_ci_u32_e32 v1, vcc_lo, s7, v1, vcc_lo
	v_and_or_b32 v4, 0x8000, v6, v5
	v_and_b32_e32 v3, 0xffff, v3
	v_lshl_or_b32 v3, v4, 16, v3
	global_store_dword v[0:1], v3, off
	global_load_dword v4, v[30:31], off offset:1532
	ds_read2_b32 v[2:3], v2 offset0:127 offset1:232
	s_waitcnt lgkmcnt(0)
	v_lshrrev_b32_e32 v5, 16, v2
	s_waitcnt vmcnt(0)
	v_mul_f16_sdwa v6, v5, v4 dst_sel:DWORD dst_unused:UNUSED_PAD src0_sel:DWORD src1_sel:WORD_1
	v_mul_f16_sdwa v7, v2, v4 dst_sel:DWORD dst_unused:UNUSED_PAD src0_sel:DWORD src1_sel:WORD_1
	v_fmac_f16_e32 v6, v2, v4
	v_fma_f16 v2, v4, v5, -v7
	v_cvt_f32_f16_e32 v4, v6
	v_cvt_f32_f16_e32 v2, v2
	v_cvt_f64_f32_e32 v[4:5], v4
	v_cvt_f64_f32_e32 v[6:7], v2
	v_mul_f64 v[4:5], v[4:5], s[4:5]
	v_mul_f64 v[6:7], v[6:7], s[4:5]
	v_and_or_b32 v2, 0x1ff, v5, v4
	v_and_or_b32 v6, 0x1ff, v7, v6
	v_lshrrev_b32_e32 v4, 8, v5
	v_bfe_u32 v8, v5, 20, 11
	v_lshrrev_b32_e32 v9, 8, v7
	v_cmp_ne_u32_e32 vcc_lo, 0, v2
	v_bfe_u32 v10, v7, 20, 11
	v_lshrrev_b32_e32 v5, 16, v5
	v_sub_nc_u32_e32 v11, 0x3f1, v8
	v_add_nc_u32_e32 v8, 0xfffffc10, v8
	v_cndmask_b32_e64 v2, 0, 1, vcc_lo
	v_cmp_ne_u32_e32 vcc_lo, 0, v6
	v_lshrrev_b32_e32 v7, 16, v7
	v_and_or_b32 v2, 0xffe, v4, v2
	v_cndmask_b32_e64 v6, 0, 1, vcc_lo
	v_sub_nc_u32_e32 v4, 0x3f1, v10
	v_add_nc_u32_e32 v10, 0xfffffc10, v10
	v_and_or_b32 v6, 0xffe, v9, v6
	v_med3_i32 v9, v11, 0, 13
	v_or_b32_e32 v11, 0x1000, v2
	v_med3_i32 v4, v4, 0, 13
	v_or_b32_e32 v12, 0x1000, v6
	v_lshrrev_b32_e32 v13, v9, v11
	v_lshrrev_b32_e32 v14, v4, v12
	v_lshlrev_b32_e32 v9, v9, v13
	v_lshlrev_b32_e32 v4, v4, v14
	v_cmp_ne_u32_e32 vcc_lo, v9, v11
	v_lshl_or_b32 v11, v8, 12, v2
	v_cndmask_b32_e64 v9, 0, 1, vcc_lo
	v_cmp_ne_u32_e32 vcc_lo, v4, v12
	v_lshl_or_b32 v12, v10, 12, v6
	v_or_b32_e32 v9, v13, v9
	v_cndmask_b32_e64 v4, 0, 1, vcc_lo
	v_cmp_gt_i32_e32 vcc_lo, 1, v8
	v_or_b32_e32 v4, v14, v4
	v_cndmask_b32_e32 v9, v11, v9, vcc_lo
	v_cmp_gt_i32_e32 vcc_lo, 1, v10
	v_and_b32_e32 v11, 7, v9
	v_cndmask_b32_e32 v4, v12, v4, vcc_lo
	v_cmp_ne_u32_e32 vcc_lo, 0, v2
	v_lshrrev_b32_e32 v9, 2, v9
	v_cmp_eq_u32_e64 s0, 3, v11
	v_and_b32_e32 v12, 7, v4
	v_cndmask_b32_e64 v2, 0, 1, vcc_lo
	v_cmp_ne_u32_e32 vcc_lo, 0, v6
	v_lshrrev_b32_e32 v4, 2, v4
	v_cmp_lt_i32_e64 s1, 5, v12
	v_cmp_eq_u32_e64 s2, 3, v12
	v_cndmask_b32_e64 v6, 0, 1, vcc_lo
	v_cmp_lt_i32_e32 vcc_lo, 5, v11
	v_lshl_or_b32 v2, v2, 9, 0x7c00
	v_lshl_or_b32 v6, v6, 9, 0x7c00
	s_or_b32 vcc_lo, s0, vcc_lo
	v_add_co_ci_u32_e32 v9, vcc_lo, 0, v9, vcc_lo
	s_or_b32 vcc_lo, s2, s1
	v_add_co_ci_u32_e32 v4, vcc_lo, 0, v4, vcc_lo
	v_cmp_gt_i32_e32 vcc_lo, 31, v8
	v_cndmask_b32_e32 v9, 0x7c00, v9, vcc_lo
	v_cmp_gt_i32_e32 vcc_lo, 31, v10
	v_cndmask_b32_e32 v4, 0x7c00, v4, vcc_lo
	v_cmp_eq_u32_e32 vcc_lo, 0x40f, v8
	v_cndmask_b32_e32 v2, v9, v2, vcc_lo
	v_cmp_eq_u32_e32 vcc_lo, 0x40f, v10
	v_and_or_b32 v2, 0x8000, v5, v2
	v_cndmask_b32_e32 v4, v4, v6, vcc_lo
	v_add_co_u32 v0, vcc_lo, v0, s6
	v_add_co_ci_u32_e32 v1, vcc_lo, s7, v1, vcc_lo
	v_and_or_b32 v4, 0x8000, v7, v4
	v_and_b32_e32 v2, 0xffff, v2
	v_lshl_or_b32 v2, v4, 16, v2
	v_lshrrev_b32_e32 v4, 16, v3
	global_store_dword v[0:1], v2, off
	global_load_dword v2, v[30:31], off offset:1952
	s_waitcnt vmcnt(0)
	v_mul_f16_sdwa v5, v4, v2 dst_sel:DWORD dst_unused:UNUSED_PAD src0_sel:DWORD src1_sel:WORD_1
	v_mul_f16_sdwa v6, v3, v2 dst_sel:DWORD dst_unused:UNUSED_PAD src0_sel:DWORD src1_sel:WORD_1
	v_fmac_f16_e32 v5, v3, v2
	v_fma_f16 v2, v2, v4, -v6
	v_cvt_f32_f16_e32 v3, v5
	v_cvt_f32_f16_e32 v4, v2
	v_cvt_f64_f32_e32 v[2:3], v3
	v_cvt_f64_f32_e32 v[4:5], v4
	v_mul_f64 v[2:3], v[2:3], s[4:5]
	v_mul_f64 v[4:5], v[4:5], s[4:5]
	v_and_or_b32 v2, 0x1ff, v3, v2
	v_and_or_b32 v4, 0x1ff, v5, v4
	v_lshrrev_b32_e32 v6, 8, v3
	v_bfe_u32 v7, v3, 20, 11
	v_lshrrev_b32_e32 v8, 8, v5
	v_cmp_ne_u32_e32 vcc_lo, 0, v2
	v_bfe_u32 v9, v5, 20, 11
	v_lshrrev_b32_e32 v3, 16, v3
	v_sub_nc_u32_e32 v10, 0x3f1, v7
	v_add_nc_u32_e32 v7, 0xfffffc10, v7
	v_cndmask_b32_e64 v2, 0, 1, vcc_lo
	v_cmp_ne_u32_e32 vcc_lo, 0, v4
	v_lshrrev_b32_e32 v5, 16, v5
	v_and_or_b32 v2, 0xffe, v6, v2
	v_cndmask_b32_e64 v4, 0, 1, vcc_lo
	v_sub_nc_u32_e32 v6, 0x3f1, v9
	v_add_nc_u32_e32 v9, 0xfffffc10, v9
	v_and_or_b32 v4, 0xffe, v8, v4
	v_med3_i32 v8, v10, 0, 13
	v_or_b32_e32 v10, 0x1000, v2
	v_med3_i32 v6, v6, 0, 13
	v_or_b32_e32 v11, 0x1000, v4
	v_lshrrev_b32_e32 v12, v8, v10
	v_lshrrev_b32_e32 v13, v6, v11
	v_lshlrev_b32_e32 v8, v8, v12
	v_lshlrev_b32_e32 v6, v6, v13
	v_cmp_ne_u32_e32 vcc_lo, v8, v10
	v_lshl_or_b32 v10, v7, 12, v2
	v_cndmask_b32_e64 v8, 0, 1, vcc_lo
	v_cmp_ne_u32_e32 vcc_lo, v6, v11
	v_lshl_or_b32 v11, v9, 12, v4
	v_or_b32_e32 v8, v12, v8
	v_cndmask_b32_e64 v6, 0, 1, vcc_lo
	v_cmp_gt_i32_e32 vcc_lo, 1, v7
	v_or_b32_e32 v6, v13, v6
	v_cndmask_b32_e32 v8, v10, v8, vcc_lo
	v_cmp_gt_i32_e32 vcc_lo, 1, v9
	v_and_b32_e32 v10, 7, v8
	v_cndmask_b32_e32 v6, v11, v6, vcc_lo
	v_cmp_ne_u32_e32 vcc_lo, 0, v2
	v_lshrrev_b32_e32 v8, 2, v8
	v_cmp_eq_u32_e64 s0, 3, v10
	v_and_b32_e32 v11, 7, v6
	v_cndmask_b32_e64 v2, 0, 1, vcc_lo
	v_cmp_ne_u32_e32 vcc_lo, 0, v4
	v_lshrrev_b32_e32 v6, 2, v6
	v_cmp_lt_i32_e64 s1, 5, v11
	v_cmp_eq_u32_e64 s2, 3, v11
	v_cndmask_b32_e64 v4, 0, 1, vcc_lo
	v_cmp_lt_i32_e32 vcc_lo, 5, v10
	v_lshl_or_b32 v2, v2, 9, 0x7c00
	v_lshl_or_b32 v4, v4, 9, 0x7c00
	s_or_b32 vcc_lo, s0, vcc_lo
	v_add_co_ci_u32_e32 v8, vcc_lo, 0, v8, vcc_lo
	s_or_b32 vcc_lo, s2, s1
	v_add_co_ci_u32_e32 v6, vcc_lo, 0, v6, vcc_lo
	v_cmp_gt_i32_e32 vcc_lo, 31, v7
	v_cndmask_b32_e32 v8, 0x7c00, v8, vcc_lo
	v_cmp_gt_i32_e32 vcc_lo, 31, v9
	v_cndmask_b32_e32 v6, 0x7c00, v6, vcc_lo
	v_cmp_eq_u32_e32 vcc_lo, 0x40f, v7
	v_cndmask_b32_e32 v2, v8, v2, vcc_lo
	v_cmp_eq_u32_e32 vcc_lo, 0x40f, v9
	v_and_or_b32 v2, 0x8000, v3, v2
	v_cndmask_b32_e32 v4, v6, v4, vcc_lo
	v_add_co_u32 v0, vcc_lo, v0, s6
	v_add_co_ci_u32_e32 v1, vcc_lo, s7, v1, vcc_lo
	v_and_or_b32 v3, 0x8000, v5, v4
	v_and_b32_e32 v2, 0xffff, v2
	v_lshl_or_b32 v2, v3, 16, v2
	ds_read_b32 v3, v79 offset:4420
	global_store_dword v[0:1], v2, off
	global_load_dword v2, v[28:29], off offset:324
	s_waitcnt lgkmcnt(0)
	v_lshrrev_b32_e32 v4, 16, v3
	s_waitcnt vmcnt(0)
	v_mul_f16_sdwa v5, v4, v2 dst_sel:DWORD dst_unused:UNUSED_PAD src0_sel:DWORD src1_sel:WORD_1
	v_mul_f16_sdwa v6, v3, v2 dst_sel:DWORD dst_unused:UNUSED_PAD src0_sel:DWORD src1_sel:WORD_1
	v_fmac_f16_e32 v5, v3, v2
	v_fma_f16 v2, v2, v4, -v6
	v_cvt_f32_f16_e32 v3, v5
	v_cvt_f32_f16_e32 v4, v2
	v_cvt_f64_f32_e32 v[2:3], v3
	v_cvt_f64_f32_e32 v[4:5], v4
	v_mul_f64 v[2:3], v[2:3], s[4:5]
	v_mul_f64 v[4:5], v[4:5], s[4:5]
	v_and_or_b32 v2, 0x1ff, v3, v2
	v_and_or_b32 v4, 0x1ff, v5, v4
	v_lshrrev_b32_e32 v6, 8, v3
	v_bfe_u32 v7, v3, 20, 11
	v_lshrrev_b32_e32 v8, 8, v5
	v_cmp_ne_u32_e32 vcc_lo, 0, v2
	v_bfe_u32 v9, v5, 20, 11
	v_lshrrev_b32_e32 v3, 16, v3
	v_sub_nc_u32_e32 v10, 0x3f1, v7
	v_add_nc_u32_e32 v7, 0xfffffc10, v7
	v_cndmask_b32_e64 v2, 0, 1, vcc_lo
	v_cmp_ne_u32_e32 vcc_lo, 0, v4
	v_lshrrev_b32_e32 v5, 16, v5
	v_and_or_b32 v2, 0xffe, v6, v2
	v_cndmask_b32_e64 v4, 0, 1, vcc_lo
	v_sub_nc_u32_e32 v6, 0x3f1, v9
	v_add_nc_u32_e32 v9, 0xfffffc10, v9
	v_and_or_b32 v4, 0xffe, v8, v4
	v_med3_i32 v8, v10, 0, 13
	v_or_b32_e32 v10, 0x1000, v2
	v_med3_i32 v6, v6, 0, 13
	v_or_b32_e32 v11, 0x1000, v4
	v_lshrrev_b32_e32 v12, v8, v10
	v_lshrrev_b32_e32 v13, v6, v11
	v_lshlrev_b32_e32 v8, v8, v12
	v_lshlrev_b32_e32 v6, v6, v13
	v_cmp_ne_u32_e32 vcc_lo, v8, v10
	v_lshl_or_b32 v10, v7, 12, v2
	v_cndmask_b32_e64 v8, 0, 1, vcc_lo
	v_cmp_ne_u32_e32 vcc_lo, v6, v11
	v_lshl_or_b32 v11, v9, 12, v4
	v_or_b32_e32 v8, v12, v8
	v_cndmask_b32_e64 v6, 0, 1, vcc_lo
	v_cmp_gt_i32_e32 vcc_lo, 1, v7
	v_or_b32_e32 v6, v13, v6
	v_cndmask_b32_e32 v8, v10, v8, vcc_lo
	v_cmp_gt_i32_e32 vcc_lo, 1, v9
	v_and_b32_e32 v10, 7, v8
	v_cndmask_b32_e32 v6, v11, v6, vcc_lo
	v_cmp_ne_u32_e32 vcc_lo, 0, v2
	v_lshrrev_b32_e32 v8, 2, v8
	v_cmp_eq_u32_e64 s0, 3, v10
	v_and_b32_e32 v11, 7, v6
	v_cndmask_b32_e64 v2, 0, 1, vcc_lo
	v_cmp_ne_u32_e32 vcc_lo, 0, v4
	v_lshrrev_b32_e32 v6, 2, v6
	v_cmp_lt_i32_e64 s1, 5, v11
	v_cmp_eq_u32_e64 s2, 3, v11
	v_cndmask_b32_e64 v4, 0, 1, vcc_lo
	v_cmp_lt_i32_e32 vcc_lo, 5, v10
	v_lshl_or_b32 v2, v2, 9, 0x7c00
	v_lshl_or_b32 v4, v4, 9, 0x7c00
	s_or_b32 vcc_lo, s0, vcc_lo
	v_add_co_ci_u32_e32 v8, vcc_lo, 0, v8, vcc_lo
	s_or_b32 vcc_lo, s2, s1
	v_add_co_ci_u32_e32 v6, vcc_lo, 0, v6, vcc_lo
	v_cmp_gt_i32_e32 vcc_lo, 31, v7
	v_cndmask_b32_e32 v8, 0x7c00, v8, vcc_lo
	v_cmp_gt_i32_e32 vcc_lo, 31, v9
	v_cndmask_b32_e32 v6, 0x7c00, v6, vcc_lo
	v_cmp_eq_u32_e32 vcc_lo, 0x40f, v7
	v_cndmask_b32_e32 v2, v8, v2, vcc_lo
	v_cmp_eq_u32_e32 vcc_lo, 0x40f, v9
	v_and_or_b32 v2, 0x8000, v3, v2
	v_cndmask_b32_e32 v4, v6, v4, vcc_lo
	v_add_co_u32 v0, vcc_lo, v0, s6
	v_add_co_ci_u32_e32 v1, vcc_lo, s7, v1, vcc_lo
	v_and_or_b32 v3, 0x8000, v5, v4
	v_and_b32_e32 v2, 0xffff, v2
	v_lshl_or_b32 v2, v3, 16, v2
	global_store_dword v[0:1], v2, off
.LBB0_23:
	s_endpgm
	.section	.rodata,"a",@progbits
	.p2align	6, 0x0
	.amdhsa_kernel bluestein_single_back_len1155_dim1_half_op_CI_CI
		.amdhsa_group_segment_fixed_size 4620
		.amdhsa_private_segment_fixed_size 0
		.amdhsa_kernarg_size 104
		.amdhsa_user_sgpr_count 6
		.amdhsa_user_sgpr_private_segment_buffer 1
		.amdhsa_user_sgpr_dispatch_ptr 0
		.amdhsa_user_sgpr_queue_ptr 0
		.amdhsa_user_sgpr_kernarg_segment_ptr 1
		.amdhsa_user_sgpr_dispatch_id 0
		.amdhsa_user_sgpr_flat_scratch_init 0
		.amdhsa_user_sgpr_private_segment_size 0
		.amdhsa_wavefront_size32 1
		.amdhsa_uses_dynamic_stack 0
		.amdhsa_system_sgpr_private_segment_wavefront_offset 0
		.amdhsa_system_sgpr_workgroup_id_x 1
		.amdhsa_system_sgpr_workgroup_id_y 0
		.amdhsa_system_sgpr_workgroup_id_z 0
		.amdhsa_system_sgpr_workgroup_info 0
		.amdhsa_system_vgpr_workitem_id 0
		.amdhsa_next_free_vgpr 193
		.amdhsa_next_free_sgpr 16
		.amdhsa_reserve_vcc 1
		.amdhsa_reserve_flat_scratch 0
		.amdhsa_float_round_mode_32 0
		.amdhsa_float_round_mode_16_64 0
		.amdhsa_float_denorm_mode_32 3
		.amdhsa_float_denorm_mode_16_64 3
		.amdhsa_dx10_clamp 1
		.amdhsa_ieee_mode 1
		.amdhsa_fp16_overflow 0
		.amdhsa_workgroup_processor_mode 1
		.amdhsa_memory_ordered 1
		.amdhsa_forward_progress 0
		.amdhsa_shared_vgpr_count 0
		.amdhsa_exception_fp_ieee_invalid_op 0
		.amdhsa_exception_fp_denorm_src 0
		.amdhsa_exception_fp_ieee_div_zero 0
		.amdhsa_exception_fp_ieee_overflow 0
		.amdhsa_exception_fp_ieee_underflow 0
		.amdhsa_exception_fp_ieee_inexact 0
		.amdhsa_exception_int_div_zero 0
	.end_amdhsa_kernel
	.text
.Lfunc_end0:
	.size	bluestein_single_back_len1155_dim1_half_op_CI_CI, .Lfunc_end0-bluestein_single_back_len1155_dim1_half_op_CI_CI
                                        ; -- End function
	.section	.AMDGPU.csdata,"",@progbits
; Kernel info:
; codeLenInByte = 40248
; NumSgprs: 18
; NumVgprs: 193
; ScratchSize: 0
; MemoryBound: 0
; FloatMode: 240
; IeeeMode: 1
; LDSByteSize: 4620 bytes/workgroup (compile time only)
; SGPRBlocks: 2
; VGPRBlocks: 24
; NumSGPRsForWavesPerEU: 18
; NumVGPRsForWavesPerEU: 193
; Occupancy: 4
; WaveLimiterHint : 1
; COMPUTE_PGM_RSRC2:SCRATCH_EN: 0
; COMPUTE_PGM_RSRC2:USER_SGPR: 6
; COMPUTE_PGM_RSRC2:TRAP_HANDLER: 0
; COMPUTE_PGM_RSRC2:TGID_X_EN: 1
; COMPUTE_PGM_RSRC2:TGID_Y_EN: 0
; COMPUTE_PGM_RSRC2:TGID_Z_EN: 0
; COMPUTE_PGM_RSRC2:TIDIG_COMP_CNT: 0
	.text
	.p2alignl 6, 3214868480
	.fill 48, 4, 3214868480
	.type	__hip_cuid_7d7d9deaf48824a8,@object ; @__hip_cuid_7d7d9deaf48824a8
	.section	.bss,"aw",@nobits
	.globl	__hip_cuid_7d7d9deaf48824a8
__hip_cuid_7d7d9deaf48824a8:
	.byte	0                               ; 0x0
	.size	__hip_cuid_7d7d9deaf48824a8, 1

	.ident	"AMD clang version 19.0.0git (https://github.com/RadeonOpenCompute/llvm-project roc-6.4.0 25133 c7fe45cf4b819c5991fe208aaa96edf142730f1d)"
	.section	".note.GNU-stack","",@progbits
	.addrsig
	.addrsig_sym __hip_cuid_7d7d9deaf48824a8
	.amdgpu_metadata
---
amdhsa.kernels:
  - .args:
      - .actual_access:  read_only
        .address_space:  global
        .offset:         0
        .size:           8
        .value_kind:     global_buffer
      - .actual_access:  read_only
        .address_space:  global
        .offset:         8
        .size:           8
        .value_kind:     global_buffer
      - .actual_access:  read_only
        .address_space:  global
        .offset:         16
        .size:           8
        .value_kind:     global_buffer
      - .actual_access:  read_only
        .address_space:  global
        .offset:         24
        .size:           8
        .value_kind:     global_buffer
      - .actual_access:  read_only
        .address_space:  global
        .offset:         32
        .size:           8
        .value_kind:     global_buffer
      - .offset:         40
        .size:           8
        .value_kind:     by_value
      - .address_space:  global
        .offset:         48
        .size:           8
        .value_kind:     global_buffer
      - .address_space:  global
        .offset:         56
        .size:           8
        .value_kind:     global_buffer
      - .address_space:  global
        .offset:         64
        .size:           8
        .value_kind:     global_buffer
      - .address_space:  global
        .offset:         72
        .size:           8
        .value_kind:     global_buffer
      - .offset:         80
        .size:           4
        .value_kind:     by_value
      - .address_space:  global
        .offset:         88
        .size:           8
        .value_kind:     global_buffer
      - .address_space:  global
        .offset:         96
        .size:           8
        .value_kind:     global_buffer
    .group_segment_fixed_size: 4620
    .kernarg_segment_align: 8
    .kernarg_segment_size: 104
    .language:       OpenCL C
    .language_version:
      - 2
      - 0
    .max_flat_workgroup_size: 55
    .name:           bluestein_single_back_len1155_dim1_half_op_CI_CI
    .private_segment_fixed_size: 0
    .sgpr_count:     18
    .sgpr_spill_count: 0
    .symbol:         bluestein_single_back_len1155_dim1_half_op_CI_CI.kd
    .uniform_work_group_size: 1
    .uses_dynamic_stack: false
    .vgpr_count:     193
    .vgpr_spill_count: 0
    .wavefront_size: 32
    .workgroup_processor_mode: 1
amdhsa.target:   amdgcn-amd-amdhsa--gfx1030
amdhsa.version:
  - 1
  - 2
...

	.end_amdgpu_metadata
